;; amdgpu-corpus repo=ROCm/rocFFT kind=compiled arch=gfx1030 opt=O3
	.text
	.amdgcn_target "amdgcn-amd-amdhsa--gfx1030"
	.amdhsa_code_object_version 6
	.protected	fft_rtc_fwd_len676_factors_13_13_4_wgs_52_tpt_52_dp_op_CI_CI_sbrr_dirReg ; -- Begin function fft_rtc_fwd_len676_factors_13_13_4_wgs_52_tpt_52_dp_op_CI_CI_sbrr_dirReg
	.globl	fft_rtc_fwd_len676_factors_13_13_4_wgs_52_tpt_52_dp_op_CI_CI_sbrr_dirReg
	.p2align	8
	.type	fft_rtc_fwd_len676_factors_13_13_4_wgs_52_tpt_52_dp_op_CI_CI_sbrr_dirReg,@function
fft_rtc_fwd_len676_factors_13_13_4_wgs_52_tpt_52_dp_op_CI_CI_sbrr_dirReg: ; @fft_rtc_fwd_len676_factors_13_13_4_wgs_52_tpt_52_dp_op_CI_CI_sbrr_dirReg
; %bb.0:
	s_clause 0x2
	s_load_dwordx4 s[16:19], s[4:5], 0x18
	s_load_dwordx4 s[8:11], s[4:5], 0x0
	;; [unrolled: 1-line block ×3, first 2 shown]
	v_mul_u32_u24_e32 v2, 0x4ed, v0
	v_mov_b32_e32 v1, 0
	v_mov_b32_e32 v4, 0
	;; [unrolled: 1-line block ×3, first 2 shown]
	s_waitcnt lgkmcnt(0)
	s_load_dwordx2 s[20:21], s[16:17], 0x0
	s_load_dwordx2 s[2:3], s[18:19], 0x0
	v_cmp_lt_u64_e64 s0, s[10:11], 2
	v_add_nc_u32_sdwa v6, s6, v2 dst_sel:DWORD dst_unused:UNUSED_PAD src0_sel:DWORD src1_sel:WORD_1
	v_mov_b32_e32 v7, v1
	s_and_b32 vcc_lo, exec_lo, s0
	s_cbranch_vccnz .LBB0_8
; %bb.1:
	s_load_dwordx2 s[0:1], s[4:5], 0x10
	v_mov_b32_e32 v4, 0
	v_mov_b32_e32 v5, 0
	s_add_u32 s6, s18, 8
	s_addc_u32 s7, s19, 0
	s_add_u32 s22, s16, 8
	s_addc_u32 s23, s17, 0
	v_mov_b32_e32 v65, v5
	v_mov_b32_e32 v64, v4
	s_mov_b64 s[26:27], 1
	s_waitcnt lgkmcnt(0)
	s_add_u32 s24, s0, 8
	s_addc_u32 s25, s1, 0
.LBB0_2:                                ; =>This Inner Loop Header: Depth=1
	s_load_dwordx2 s[28:29], s[24:25], 0x0
                                        ; implicit-def: $vgpr66_vgpr67
	s_mov_b32 s0, exec_lo
	s_waitcnt lgkmcnt(0)
	v_or_b32_e32 v2, s29, v7
	v_cmpx_ne_u64_e32 0, v[1:2]
	s_xor_b32 s1, exec_lo, s0
	s_cbranch_execz .LBB0_4
; %bb.3:                                ;   in Loop: Header=BB0_2 Depth=1
	v_cvt_f32_u32_e32 v2, s28
	v_cvt_f32_u32_e32 v3, s29
	s_sub_u32 s0, 0, s28
	s_subb_u32 s30, 0, s29
	v_fmac_f32_e32 v2, 0x4f800000, v3
	v_rcp_f32_e32 v2, v2
	v_mul_f32_e32 v2, 0x5f7ffffc, v2
	v_mul_f32_e32 v3, 0x2f800000, v2
	v_trunc_f32_e32 v3, v3
	v_fmac_f32_e32 v2, 0xcf800000, v3
	v_cvt_u32_f32_e32 v3, v3
	v_cvt_u32_f32_e32 v2, v2
	v_mul_lo_u32 v8, s0, v3
	v_mul_hi_u32 v9, s0, v2
	v_mul_lo_u32 v10, s30, v2
	v_add_nc_u32_e32 v8, v9, v8
	v_mul_lo_u32 v9, s0, v2
	v_add_nc_u32_e32 v8, v8, v10
	v_mul_hi_u32 v10, v2, v9
	v_mul_lo_u32 v11, v2, v8
	v_mul_hi_u32 v12, v2, v8
	v_mul_hi_u32 v13, v3, v9
	v_mul_lo_u32 v9, v3, v9
	v_mul_hi_u32 v14, v3, v8
	v_mul_lo_u32 v8, v3, v8
	v_add_co_u32 v10, vcc_lo, v10, v11
	v_add_co_ci_u32_e32 v11, vcc_lo, 0, v12, vcc_lo
	v_add_co_u32 v9, vcc_lo, v10, v9
	v_add_co_ci_u32_e32 v9, vcc_lo, v11, v13, vcc_lo
	v_add_co_ci_u32_e32 v10, vcc_lo, 0, v14, vcc_lo
	v_add_co_u32 v8, vcc_lo, v9, v8
	v_add_co_ci_u32_e32 v9, vcc_lo, 0, v10, vcc_lo
	v_add_co_u32 v2, vcc_lo, v2, v8
	v_add_co_ci_u32_e32 v3, vcc_lo, v3, v9, vcc_lo
	v_mul_hi_u32 v8, s0, v2
	v_mul_lo_u32 v10, s30, v2
	v_mul_lo_u32 v9, s0, v3
	v_add_nc_u32_e32 v8, v8, v9
	v_mul_lo_u32 v9, s0, v2
	v_add_nc_u32_e32 v8, v8, v10
	v_mul_hi_u32 v10, v2, v9
	v_mul_lo_u32 v11, v2, v8
	v_mul_hi_u32 v12, v2, v8
	v_mul_hi_u32 v13, v3, v9
	v_mul_lo_u32 v9, v3, v9
	v_mul_hi_u32 v14, v3, v8
	v_mul_lo_u32 v8, v3, v8
	v_add_co_u32 v10, vcc_lo, v10, v11
	v_add_co_ci_u32_e32 v11, vcc_lo, 0, v12, vcc_lo
	v_add_co_u32 v9, vcc_lo, v10, v9
	v_add_co_ci_u32_e32 v9, vcc_lo, v11, v13, vcc_lo
	v_add_co_ci_u32_e32 v10, vcc_lo, 0, v14, vcc_lo
	v_add_co_u32 v8, vcc_lo, v9, v8
	v_add_co_ci_u32_e32 v9, vcc_lo, 0, v10, vcc_lo
	v_add_co_u32 v8, vcc_lo, v2, v8
	v_add_co_ci_u32_e32 v10, vcc_lo, v3, v9, vcc_lo
	v_mul_hi_u32 v12, v6, v8
	v_mad_u64_u32 v[8:9], null, v7, v8, 0
	v_mad_u64_u32 v[2:3], null, v6, v10, 0
	v_mad_u64_u32 v[10:11], null, v7, v10, 0
	v_add_co_u32 v2, vcc_lo, v12, v2
	v_add_co_ci_u32_e32 v3, vcc_lo, 0, v3, vcc_lo
	v_add_co_u32 v2, vcc_lo, v2, v8
	v_add_co_ci_u32_e32 v2, vcc_lo, v3, v9, vcc_lo
	v_add_co_ci_u32_e32 v3, vcc_lo, 0, v11, vcc_lo
	v_add_co_u32 v8, vcc_lo, v2, v10
	v_add_co_ci_u32_e32 v9, vcc_lo, 0, v3, vcc_lo
	v_mul_lo_u32 v10, s29, v8
	v_mad_u64_u32 v[2:3], null, s28, v8, 0
	v_mul_lo_u32 v11, s28, v9
	v_sub_co_u32 v2, vcc_lo, v6, v2
	v_add3_u32 v3, v3, v11, v10
	v_sub_nc_u32_e32 v10, v7, v3
	v_subrev_co_ci_u32_e64 v10, s0, s29, v10, vcc_lo
	v_add_co_u32 v11, s0, v8, 2
	v_add_co_ci_u32_e64 v12, s0, 0, v9, s0
	v_sub_co_u32 v13, s0, v2, s28
	v_sub_co_ci_u32_e32 v3, vcc_lo, v7, v3, vcc_lo
	v_subrev_co_ci_u32_e64 v10, s0, 0, v10, s0
	v_cmp_le_u32_e32 vcc_lo, s28, v13
	v_cmp_eq_u32_e64 s0, s29, v3
	v_cndmask_b32_e64 v13, 0, -1, vcc_lo
	v_cmp_le_u32_e32 vcc_lo, s29, v10
	v_cndmask_b32_e64 v14, 0, -1, vcc_lo
	v_cmp_le_u32_e32 vcc_lo, s28, v2
	;; [unrolled: 2-line block ×3, first 2 shown]
	v_cndmask_b32_e64 v15, 0, -1, vcc_lo
	v_cmp_eq_u32_e32 vcc_lo, s29, v10
	v_cndmask_b32_e64 v2, v15, v2, s0
	v_cndmask_b32_e32 v10, v14, v13, vcc_lo
	v_add_co_u32 v13, vcc_lo, v8, 1
	v_add_co_ci_u32_e32 v14, vcc_lo, 0, v9, vcc_lo
	v_cmp_ne_u32_e32 vcc_lo, 0, v10
	v_cndmask_b32_e32 v3, v14, v12, vcc_lo
	v_cndmask_b32_e32 v10, v13, v11, vcc_lo
	v_cmp_ne_u32_e32 vcc_lo, 0, v2
	v_cndmask_b32_e32 v67, v9, v3, vcc_lo
	v_cndmask_b32_e32 v66, v8, v10, vcc_lo
.LBB0_4:                                ;   in Loop: Header=BB0_2 Depth=1
	s_andn2_saveexec_b32 s0, s1
	s_cbranch_execz .LBB0_6
; %bb.5:                                ;   in Loop: Header=BB0_2 Depth=1
	v_cvt_f32_u32_e32 v2, s28
	s_sub_i32 s1, 0, s28
	v_mov_b32_e32 v67, v1
	v_rcp_iflag_f32_e32 v2, v2
	v_mul_f32_e32 v2, 0x4f7ffffe, v2
	v_cvt_u32_f32_e32 v2, v2
	v_mul_lo_u32 v3, s1, v2
	v_mul_hi_u32 v3, v2, v3
	v_add_nc_u32_e32 v2, v2, v3
	v_mul_hi_u32 v2, v6, v2
	v_mul_lo_u32 v3, v2, s28
	v_add_nc_u32_e32 v8, 1, v2
	v_sub_nc_u32_e32 v3, v6, v3
	v_subrev_nc_u32_e32 v9, s28, v3
	v_cmp_le_u32_e32 vcc_lo, s28, v3
	v_cndmask_b32_e32 v3, v3, v9, vcc_lo
	v_cndmask_b32_e32 v2, v2, v8, vcc_lo
	v_cmp_le_u32_e32 vcc_lo, s28, v3
	v_add_nc_u32_e32 v8, 1, v2
	v_cndmask_b32_e32 v66, v2, v8, vcc_lo
.LBB0_6:                                ;   in Loop: Header=BB0_2 Depth=1
	s_or_b32 exec_lo, exec_lo, s0
	v_mul_lo_u32 v8, v67, s28
	v_mul_lo_u32 v9, v66, s29
	s_load_dwordx2 s[0:1], s[22:23], 0x0
	v_mad_u64_u32 v[2:3], null, v66, s28, 0
	s_load_dwordx2 s[28:29], s[6:7], 0x0
	s_add_u32 s26, s26, 1
	s_addc_u32 s27, s27, 0
	s_add_u32 s6, s6, 8
	s_addc_u32 s7, s7, 0
	s_add_u32 s22, s22, 8
	v_add3_u32 v3, v3, v9, v8
	v_sub_co_u32 v2, vcc_lo, v6, v2
	s_addc_u32 s23, s23, 0
	s_add_u32 s24, s24, 8
	v_sub_co_ci_u32_e32 v3, vcc_lo, v7, v3, vcc_lo
	s_addc_u32 s25, s25, 0
	s_waitcnt lgkmcnt(0)
	v_mul_lo_u32 v6, s0, v3
	v_mul_lo_u32 v7, s1, v2
	v_mad_u64_u32 v[4:5], null, s0, v2, v[4:5]
	v_mul_lo_u32 v3, s28, v3
	v_mul_lo_u32 v8, s29, v2
	v_mad_u64_u32 v[64:65], null, s28, v2, v[64:65]
	v_cmp_ge_u64_e64 s0, s[26:27], s[10:11]
	v_add3_u32 v5, v7, v5, v6
	v_add3_u32 v65, v8, v65, v3
	s_and_b32 vcc_lo, exec_lo, s0
	s_cbranch_vccnz .LBB0_9
; %bb.7:                                ;   in Loop: Header=BB0_2 Depth=1
	v_mov_b32_e32 v6, v66
	v_mov_b32_e32 v7, v67
	s_branch .LBB0_2
.LBB0_8:
	v_mov_b32_e32 v65, v5
	v_mov_b32_e32 v67, v7
	;; [unrolled: 1-line block ×4, first 2 shown]
.LBB0_9:
	s_load_dwordx2 s[0:1], s[4:5], 0x28
	v_mul_hi_u32 v1, 0x4ec4ec5, v0
	s_lshl_b64 s[4:5], s[10:11], 3
                                        ; implicit-def: $vgpr106
                                        ; implicit-def: $vgpr108
                                        ; implicit-def: $vgpr109
                                        ; implicit-def: $vgpr107
	s_add_u32 s34, s18, s4
	s_addc_u32 s35, s19, s5
	s_waitcnt lgkmcnt(0)
	v_cmp_gt_u64_e32 vcc_lo, s[0:1], v[66:67]
	v_cmp_le_u64_e64 s0, s[0:1], v[66:67]
	s_and_saveexec_b32 s1, s0
	s_xor_b32 s0, exec_lo, s1
; %bb.10:
	v_mul_u32_u24_e32 v1, 52, v1
                                        ; implicit-def: $vgpr4_vgpr5
	v_sub_nc_u32_e32 v106, v0, v1
                                        ; implicit-def: $vgpr1
                                        ; implicit-def: $vgpr0
	v_add_nc_u32_e32 v108, 52, v106
	v_add_nc_u32_e32 v109, 0x68, v106
	;; [unrolled: 1-line block ×3, first 2 shown]
; %bb.11:
	s_or_saveexec_b32 s1, s0
                                        ; implicit-def: $vgpr38_vgpr39
                                        ; implicit-def: $vgpr50_vgpr51
                                        ; implicit-def: $vgpr34_vgpr35
                                        ; implicit-def: $vgpr30_vgpr31
                                        ; implicit-def: $vgpr18_vgpr19
                                        ; implicit-def: $vgpr14_vgpr15
                                        ; implicit-def: $vgpr6_vgpr7
                                        ; implicit-def: $vgpr10_vgpr11
                                        ; implicit-def: $vgpr26_vgpr27
                                        ; implicit-def: $vgpr22_vgpr23
                                        ; implicit-def: $vgpr42_vgpr43
                                        ; implicit-def: $vgpr46_vgpr47
                                        ; implicit-def: $vgpr2_vgpr3
	s_xor_b32 exec_lo, exec_lo, s1
	s_cbranch_execz .LBB0_13
; %bb.12:
	s_add_u32 s4, s16, s4
	s_addc_u32 s5, s17, s5
	v_mul_u32_u24_e32 v1, 52, v1
	s_load_dwordx2 s[4:5], s[4:5], 0x0
	v_lshlrev_b64 v[4:5], 4, v[4:5]
	v_sub_nc_u32_e32 v106, v0, v1
	v_add_nc_u32_e32 v108, 52, v106
	v_mad_u64_u32 v[0:1], null, s20, v106, 0
	v_add_nc_u32_e32 v109, 0x68, v106
	v_add_nc_u32_e32 v107, 0x9c, v106
	v_mad_u64_u32 v[2:3], null, s20, v108, 0
	v_add_nc_u32_e32 v16, 0xd0, v106
	v_mad_u64_u32 v[6:7], null, s20, v109, 0
	v_mad_u64_u32 v[10:11], null, s20, v107, 0
	s_waitcnt lgkmcnt(0)
	v_mul_lo_u32 v14, s5, v66
	v_mul_lo_u32 v15, s4, v67
	v_mad_u64_u32 v[8:9], null, s4, v66, 0
	v_mad_u64_u32 v[12:13], null, s21, v106, v[1:2]
	v_add_nc_u32_e32 v17, 0x104, v106
	v_add_nc_u32_e32 v18, 0x138, v106
	;; [unrolled: 1-line block ×4, first 2 shown]
	v_add3_u32 v9, v9, v15, v14
	v_add_nc_u32_e32 v52, 0x23c, v106
	v_mov_b32_e32 v1, v12
	v_mad_u64_u32 v[12:13], null, s21, v108, v[3:4]
	v_lshlrev_b64 v[8:9], 4, v[8:9]
	v_add_nc_u32_e32 v53, 0x270, v106
	v_lshlrev_b64 v[0:1], 4, v[0:1]
	v_mad_u64_u32 v[13:14], null, s21, v109, v[7:8]
	v_add_co_u32 v7, s0, s12, v8
	v_add_co_ci_u32_e64 v8, s0, s13, v9, s0
	v_mov_b32_e32 v3, v12
	v_add_co_u32 v26, s0, v7, v4
	v_add_co_ci_u32_e64 v27, s0, v8, v5, s0
	v_lshlrev_b64 v[2:3], 4, v[2:3]
	v_add_co_u32 v0, s0, v26, v0
	v_mad_u64_u32 v[8:9], null, s21, v107, v[11:12]
	v_add_co_ci_u32_e64 v1, s0, v27, v1, s0
	v_add_co_u32 v4, s0, v26, v2
	v_mad_u64_u32 v[14:15], null, s20, v16, 0
	v_mov_b32_e32 v7, v13
	v_add_co_ci_u32_e64 v5, s0, v27, v3, s0
	s_clause 0x1
	global_load_dwordx4 v[0:3], v[0:1], off
	global_load_dwordx4 v[36:39], v[4:5], off
	v_lshlrev_b64 v[4:5], 4, v[6:7]
	v_mov_b32_e32 v11, v8
	v_mad_u64_u32 v[7:8], null, s20, v17, 0
	v_mov_b32_e32 v6, v15
	v_mad_u64_u32 v[24:25], null, s20, v53, 0
	v_lshlrev_b64 v[9:10], 4, v[10:11]
	v_add_co_u32 v4, s0, v26, v4
	v_mad_u64_u32 v[11:12], null, s21, v16, v[6:7]
	v_mov_b32_e32 v6, v8
	v_add_co_ci_u32_e64 v5, s0, v27, v5, s0
	v_add_co_u32 v8, s0, v26, v9
	v_mad_u64_u32 v[12:13], null, s20, v18, 0
	v_add_co_ci_u32_e64 v9, s0, v27, v10, s0
	v_mov_b32_e32 v15, v11
	v_mad_u64_u32 v[10:11], null, s21, v17, v[6:7]
	v_mad_u64_u32 v[16:17], null, s20, v19, 0
	v_mov_b32_e32 v6, v13
	s_clause 0x1
	global_load_dwordx4 v[48:51], v[4:5], off
	global_load_dwordx4 v[44:47], v[8:9], off
	v_lshlrev_b64 v[4:5], 4, v[14:15]
	v_mov_b32_e32 v8, v10
	v_mad_u64_u32 v[13:14], null, s21, v18, v[6:7]
	v_mov_b32_e32 v6, v17
	v_add_nc_u32_e32 v14, 0x1a0, v106
	v_lshlrev_b64 v[7:8], 4, v[7:8]
	v_add_co_u32 v4, s0, v26, v4
	v_add_co_ci_u32_e64 v5, s0, v27, v5, s0
	v_add_nc_u32_e32 v18, 0x1d4, v106
	v_mad_u64_u32 v[9:10], null, s21, v19, v[6:7]
	v_lshlrev_b64 v[10:11], 4, v[12:13]
	v_mad_u64_u32 v[12:13], null, s20, v14, 0
	v_add_co_u32 v6, s0, v26, v7
	v_add_co_ci_u32_e64 v7, s0, v27, v8, s0
	v_mov_b32_e32 v17, v9
	s_clause 0x1
	global_load_dwordx4 v[40:43], v[4:5], off
	global_load_dwordx4 v[32:35], v[6:7], off
	v_mov_b32_e32 v6, v13
	v_add_co_u32 v4, s0, v26, v10
	v_lshlrev_b64 v[7:8], 4, v[16:17]
	v_add_co_ci_u32_e64 v5, s0, v27, v11, s0
	v_mad_u64_u32 v[16:17], null, s20, v52, 0
	v_mad_u64_u32 v[9:10], null, s21, v14, v[6:7]
	;; [unrolled: 1-line block ×4, first 2 shown]
	v_add_co_u32 v6, s0, v26, v7
	v_add_co_ci_u32_e64 v7, s0, v27, v8, s0
	v_mov_b32_e32 v13, v9
	v_mov_b32_e32 v8, v11
	;; [unrolled: 1-line block ×3, first 2 shown]
	v_mad_u64_u32 v[18:19], null, s21, v18, v[8:9]
	v_mad_u64_u32 v[8:9], null, s21, v20, v[9:10]
	s_clause 0x1
	global_load_dwordx4 v[28:31], v[4:5], off
	global_load_dwordx4 v[20:23], v[6:7], off
	v_lshlrev_b64 v[5:6], 4, v[12:13]
	v_mov_b32_e32 v4, v17
	v_mov_b32_e32 v11, v18
	;; [unrolled: 1-line block ×3, first 2 shown]
	v_mad_u64_u32 v[7:8], null, s21, v52, v[4:5]
	v_mov_b32_e32 v4, v25
	v_add_co_u32 v5, s0, v26, v5
	v_lshlrev_b64 v[8:9], 4, v[10:11]
	v_add_co_ci_u32_e64 v6, s0, v27, v6, s0
	v_mad_u64_u32 v[10:11], null, s21, v53, v[4:5]
	v_lshlrev_b64 v[11:12], 4, v[14:15]
	v_mov_b32_e32 v17, v7
	v_add_co_u32 v7, s0, v26, v8
	v_add_co_ci_u32_e64 v8, s0, v27, v9, s0
	v_mov_b32_e32 v25, v10
	v_lshlrev_b64 v[13:14], 4, v[16:17]
	v_add_co_u32 v9, s0, v26, v11
	v_add_co_ci_u32_e64 v10, s0, v27, v12, s0
	v_lshlrev_b64 v[11:12], 4, v[24:25]
	v_add_co_u32 v52, s0, v26, v13
	v_add_co_ci_u32_e64 v53, s0, v27, v14, s0
	v_add_co_u32 v54, s0, v26, v11
	v_add_co_ci_u32_e64 v55, s0, v27, v12, s0
	s_clause 0x4
	global_load_dwordx4 v[24:27], v[5:6], off
	global_load_dwordx4 v[16:19], v[7:8], off
	global_load_dwordx4 v[12:15], v[9:10], off
	global_load_dwordx4 v[8:11], v[52:53], off
	global_load_dwordx4 v[4:7], v[54:55], off
.LBB0_13:
	s_or_b32 exec_lo, exec_lo, s1
	s_waitcnt vmcnt(11)
	v_add_f64 v[94:95], v[36:37], v[0:1]
	v_add_f64 v[96:97], v[38:39], v[2:3]
	s_waitcnt vmcnt(2)
	v_add_f64 v[88:89], v[12:13], v[44:45]
	v_add_f64 v[76:77], v[14:15], v[46:47]
	v_add_f64 v[86:87], v[44:45], -v[12:13]
	v_add_f64 v[82:83], v[46:47], -v[14:15]
	v_add_f64 v[78:79], v[16:17], v[40:41]
	v_add_f64 v[68:69], v[18:19], v[42:43]
	v_add_f64 v[80:81], v[40:41], -v[16:17]
	v_add_f64 v[74:75], v[42:43], -v[18:19]
	s_waitcnt vmcnt(1)
	v_add_f64 v[92:93], v[48:49], v[8:9]
	v_add_f64 v[84:85], v[50:51], v[10:11]
	v_add_f64 v[90:91], v[48:49], -v[8:9]
	v_add_f64 v[70:71], v[32:33], v[24:25]
	v_add_f64 v[56:57], v[34:35], v[26:27]
	v_add_f64 v[72:73], v[32:33], -v[24:25]
	v_add_f64 v[62:63], v[34:35], -v[26:27]
	s_mov_b32 s22, 0x4267c47c
	s_mov_b32 s23, 0x3fddbe06
	;; [unrolled: 1-line block ×4, first 2 shown]
	s_waitcnt vmcnt(0)
	v_add_f64 v[98:99], v[38:39], v[6:7]
	v_add_f64 v[94:95], v[48:49], v[94:95]
	v_add_f64 v[96:97], v[50:51], v[96:97]
	v_add_f64 v[48:49], v[50:51], -v[10:11]
	v_add_f64 v[50:51], v[36:37], v[4:5]
	v_add_f64 v[36:37], v[36:37], -v[4:5]
	s_mov_b32 s12, 0xe00740e9
	s_mov_b32 s13, 0x3fec55a7
	v_add_f64 v[58:59], v[28:29], v[20:21]
	v_add_f64 v[52:53], v[30:31], v[22:23]
	v_add_f64 v[60:61], v[28:29], -v[20:21]
	v_add_f64 v[54:55], v[30:31], -v[22:23]
	;; [unrolled: 1-line block ×3, first 2 shown]
	s_mov_b32 s0, 0x1ea71119
	s_mov_b32 s24, 0x42a4c3d2
	;; [unrolled: 1-line block ×10, first 2 shown]
	v_add_f64 v[44:45], v[44:45], v[94:95]
	v_add_f64 v[46:47], v[46:47], v[96:97]
	s_mov_b32 s7, 0xbfd6b1d8
	s_mov_b32 s11, 0xbfe7f3cc
	;; [unrolled: 1-line block ×4, first 2 shown]
	v_mul_f64 v[94:95], v[50:51], s[0:1]
	v_mul_f64 v[96:97], v[50:51], s[4:5]
	;; [unrolled: 1-line block ×7, first 2 shown]
	s_mov_b32 s16, 0x66966769
	s_mov_b32 s38, 0x2ef20147
	;; [unrolled: 1-line block ×9, first 2 shown]
	v_add_f64 v[40:41], v[40:41], v[44:45]
	v_add_f64 v[42:43], v[42:43], v[46:47]
	v_mul_f64 v[46:47], v[36:37], s[44:45]
	v_mul_f64 v[44:45], v[50:51], s[12:13]
	;; [unrolled: 1-line block ×3, first 2 shown]
	s_mov_b32 s27, 0xbfe5384d
	s_mov_b32 s29, 0x3fcea1e5
	;; [unrolled: 1-line block ×7, first 2 shown]
	v_mul_f64 v[122:123], v[86:87], s[36:37]
	v_fma_f64 v[168:169], v[84:85], s[0:1], v[118:119]
	v_fma_f64 v[170:171], v[38:39], s[24:25], v[94:95]
	;; [unrolled: 1-line block ×9, first 2 shown]
	v_add_f64 v[32:33], v[32:33], v[40:41]
	v_add_f64 v[34:35], v[34:35], v[42:43]
	v_fma_f64 v[164:165], v[98:99], s[12:13], v[46:47]
	v_fma_f64 v[156:157], v[38:39], s[22:23], v[44:45]
	;; [unrolled: 1-line block ×3, first 2 shown]
	v_fma_f64 v[46:47], v[98:99], s[12:13], -v[46:47]
	v_fma_f64 v[178:179], v[38:39], s[28:29], v[50:51]
	v_fma_f64 v[38:39], v[38:39], s[42:43], v[50:51]
	v_mul_f64 v[120:121], v[88:89], s[4:5]
	v_mul_f64 v[132:133], v[92:93], s[6:7]
	;; [unrolled: 1-line block ×3, first 2 shown]
	v_fma_f64 v[166:167], v[48:49], s[24:25], v[116:117]
	v_fma_f64 v[116:117], v[48:49], s[30:31], v[116:117]
	v_mul_f64 v[126:127], v[80:81], s[20:21]
	v_fma_f64 v[118:119], v[84:85], s[0:1], -v[118:119]
	v_mul_f64 v[110:111], v[36:37], s[36:37]
	v_mul_f64 v[112:113], v[36:37], s[20:21]
	;; [unrolled: 1-line block ×7, first 2 shown]
	v_add_f64 v[28:29], v[28:29], v[32:33]
	v_add_f64 v[30:31], v[30:31], v[34:35]
	;; [unrolled: 1-line block ×4, first 2 shown]
	v_fma_f64 v[164:165], v[98:99], s[0:1], v[104:105]
	v_add_f64 v[44:45], v[44:45], v[0:1]
	v_add_f64 v[46:47], v[46:47], v[2:3]
	;; [unrolled: 1-line block ×3, first 2 shown]
	v_mul_f64 v[40:41], v[72:73], s[26:27]
	v_fma_f64 v[104:105], v[98:99], s[0:1], -v[104:105]
	v_mul_f64 v[128:129], v[70:71], s[10:11]
	v_mul_f64 v[140:141], v[78:79], s[10:11]
	v_mul_f64 v[142:143], v[80:81], s[40:41]
	v_mul_f64 v[146:147], v[92:93], s[18:19]
	v_mul_f64 v[148:149], v[90:91], s[42:43]
	v_fma_f64 v[180:181], v[98:99], s[4:5], v[110:111]
	v_fma_f64 v[110:111], v[98:99], s[4:5], -v[110:111]
	v_fma_f64 v[182:183], v[98:99], s[6:7], v[112:113]
	v_fma_f64 v[112:113], v[98:99], s[6:7], -v[112:113]
	;; [unrolled: 2-line block ×3, first 2 shown]
	v_fma_f64 v[186:187], v[98:99], s[18:19], v[36:37]
	v_add_f64 v[20:21], v[20:21], v[28:29]
	v_add_f64 v[22:23], v[22:23], v[30:31]
	v_fma_f64 v[30:31], v[76:77], s[4:5], v[122:123]
	v_add_f64 v[50:51], v[168:169], v[50:51]
	v_fma_f64 v[28:29], v[82:83], s[16:17], v[120:121]
	;; [unrolled: 2-line block ×3, first 2 shown]
	v_add_f64 v[164:165], v[164:165], v[2:3]
	v_add_f64 v[44:45], v[116:117], v[44:45]
	v_fma_f64 v[166:167], v[68:69], s[6:7], v[126:127]
	v_fma_f64 v[122:123], v[76:77], s[4:5], -v[122:123]
	v_add_f64 v[46:47], v[118:119], v[46:47]
	v_fma_f64 v[36:37], v[98:99], s[18:19], -v[36:37]
	v_fma_f64 v[98:99], v[74:75], s[38:39], v[124:125]
	v_fma_f64 v[188:189], v[82:83], s[28:29], v[136:137]
	;; [unrolled: 1-line block ×4, first 2 shown]
	v_mul_f64 v[130:131], v[60:61], s[42:43]
	v_fma_f64 v[126:127], v[68:69], s[6:7], -v[126:127]
	v_fma_f64 v[118:119], v[56:57], s[10:11], v[40:41]
	v_add_f64 v[104:105], v[104:105], v[2:3]
	v_mul_f64 v[42:43], v[58:59], s[18:19]
	v_add_f64 v[20:21], v[24:25], v[20:21]
	v_add_f64 v[22:23], v[26:27], v[22:23]
	v_fma_f64 v[24:25], v[48:49], s[38:39], v[132:133]
	v_fma_f64 v[26:27], v[84:85], s[6:7], v[134:135]
	v_add_f64 v[30:31], v[30:31], v[50:51]
	v_add_f64 v[28:29], v[28:29], v[156:157]
	v_fma_f64 v[134:135], v[84:85], s[6:7], -v[134:135]
	v_mul_f64 v[144:145], v[70:71], s[4:5]
	v_add_f64 v[44:45], v[120:121], v[44:45]
	v_mul_f64 v[150:151], v[72:73], s[16:17]
	v_mul_f64 v[154:155], v[88:89], s[6:7]
	v_add_f64 v[46:47], v[122:123], v[46:47]
	v_mul_f64 v[158:159], v[86:87], s[38:39]
	v_mul_f64 v[162:163], v[92:93], s[10:11]
	;; [unrolled: 1-line block ×3, first 2 shown]
	v_fma_f64 v[132:133], v[48:49], s[20:21], v[132:133]
	v_fma_f64 v[168:169], v[48:49], s[28:29], v[146:147]
	;; [unrolled: 1-line block ×5, first 2 shown]
	v_fma_f64 v[148:149], v[84:85], s[18:19], -v[148:149]
	v_fma_f64 v[128:129], v[62:63], s[26:27], v[128:129]
	v_add_f64 v[20:21], v[16:17], v[20:21]
	v_add_f64 v[18:19], v[18:19], v[22:23]
	;; [unrolled: 1-line block ×5, first 2 shown]
	v_fma_f64 v[22:23], v[74:75], s[26:27], v[140:141]
	v_fma_f64 v[192:193], v[68:69], s[10:11], v[142:143]
	v_add_f64 v[28:29], v[98:99], v[28:29]
	v_add_f64 v[94:95], v[94:95], v[0:1]
	;; [unrolled: 1-line block ×7, first 2 shown]
	v_fma_f64 v[40:41], v[56:57], s[10:11], -v[40:41]
	v_fma_f64 v[170:171], v[52:53], s[18:19], v[130:131]
	v_fma_f64 v[16:17], v[52:53], s[18:19], -v[130:131]
	v_fma_f64 v[130:131], v[82:83], s[42:43], v[136:137]
	v_fma_f64 v[136:137], v[76:77], s[18:19], -v[138:139]
	v_add_f64 v[46:47], v[126:127], v[46:47]
	v_add_f64 v[104:105], v[134:135], v[104:105]
	v_mul_f64 v[160:161], v[78:79], s[12:13]
	v_add_f64 v[12:13], v[12:13], v[20:21]
	v_add_f64 v[14:15], v[14:15], v[18:19]
	;; [unrolled: 1-line block ×5, first 2 shown]
	v_mul_f64 v[34:35], v[80:81], s[22:23]
	v_fma_f64 v[50:51], v[54:55], s[28:29], v[42:43]
	v_fma_f64 v[42:43], v[54:55], s[42:43], v[42:43]
	;; [unrolled: 1-line block ×7, first 2 shown]
	v_fma_f64 v[20:21], v[76:77], s[6:7], -v[158:159]
	v_fma_f64 v[154:155], v[48:49], s[26:27], v[162:163]
	v_fma_f64 v[158:159], v[84:85], s[10:11], v[32:33]
	v_add_f64 v[172:173], v[174:175], v[0:1]
	v_add_f64 v[174:175], v[182:183], v[2:3]
	;; [unrolled: 1-line block ×13, first 2 shown]
	v_mul_f64 v[26:27], v[86:87], s[22:23]
	v_add_f64 v[112:113], v[112:113], v[2:3]
	v_add_f64 v[116:117], v[184:185], v[2:3]
	;; [unrolled: 1-line block ×8, first 2 shown]
	v_fma_f64 v[46:47], v[68:69], s[10:11], -v[142:143]
	v_add_f64 v[100:101], v[100:101], v[0:1]
	v_add_f64 v[14:15], v[176:177], v[0:1]
	;; [unrolled: 1-line block ×7, first 2 shown]
	v_mul_f64 v[12:13], v[88:89], s[12:13]
	v_add_f64 v[4:5], v[4:5], v[8:9]
	v_add_f64 v[28:29], v[130:131], v[94:95]
	;; [unrolled: 1-line block ×4, first 2 shown]
	v_fma_f64 v[104:105], v[74:75], s[44:45], v[160:161]
	v_fma_f64 v[118:119], v[68:69], s[12:13], v[34:35]
	v_mul_f64 v[120:121], v[70:71], s[0:1]
	v_mul_f64 v[124:125], v[72:73], s[30:31]
	v_add_f64 v[18:19], v[18:19], v[96:97]
	v_fma_f64 v[96:97], v[74:75], s[22:23], v[160:161]
	v_add_f64 v[8:9], v[42:43], v[44:45]
	v_add_f64 v[22:23], v[122:123], v[22:23]
	;; [unrolled: 1-line block ×4, first 2 shown]
	v_fma_f64 v[34:35], v[68:69], s[12:13], -v[34:35]
	v_add_f64 v[44:45], v[154:155], v[172:173]
	v_add_f64 v[98:99], v[158:159], v[174:175]
	v_fma_f64 v[122:123], v[76:77], s[12:13], v[26:27]
	v_mul_f64 v[128:129], v[78:79], s[4:5]
	v_mul_f64 v[130:131], v[80:81], s[36:37]
	v_add_f64 v[30:31], v[46:47], v[30:31]
	v_fma_f64 v[110:111], v[82:83], s[44:45], v[12:13]
	v_fma_f64 v[46:47], v[56:57], s[4:5], -v[150:151]
	v_mul_f64 v[136:137], v[90:91], s[16:17]
	v_mul_f64 v[90:91], v[90:91], s[22:23]
	v_fma_f64 v[40:41], v[74:75], s[40:41], v[140:141]
	v_add_f64 v[50:51], v[104:105], v[50:51]
	v_add_f64 v[94:95], v[118:119], v[94:95]
	v_fma_f64 v[104:105], v[62:63], s[24:25], v[120:121]
	v_fma_f64 v[118:119], v[56:57], s[0:1], v[124:125]
	v_mul_f64 v[146:147], v[86:87], s[30:31]
	v_add_f64 v[18:19], v[96:97], v[18:19]
	v_fma_f64 v[96:97], v[62:63], s[30:31], v[120:121]
	v_mul_f64 v[120:121], v[92:93], s[4:5]
	v_mul_f64 v[92:93], v[92:93], s[12:13]
	;; [unrolled: 1-line block ×3, first 2 shown]
	v_add_f64 v[20:21], v[34:35], v[20:21]
	v_fma_f64 v[34:35], v[56:57], s[0:1], -v[124:125]
	v_fma_f64 v[32:33], v[84:85], s[10:11], -v[32:33]
	v_add_f64 v[98:99], v[122:123], v[98:99]
	v_fma_f64 v[12:13], v[82:83], s[22:23], v[12:13]
	v_fma_f64 v[122:123], v[68:69], s[4:5], v[130:131]
	v_fma_f64 v[26:27], v[76:77], s[12:13], -v[26:27]
	v_add_f64 v[44:45], v[110:111], v[44:45]
	v_fma_f64 v[110:111], v[74:75], s[16:17], v[128:129]
	v_add_f64 v[124:125], v[46:47], v[30:31]
	v_fma_f64 v[30:31], v[48:49], s[40:41], v[162:163]
	;; [unrolled: 2-line block ×3, first 2 shown]
	v_mul_f64 v[144:145], v[72:73], s[28:29]
	v_add_f64 v[50:51], v[104:105], v[50:51]
	v_add_f64 v[94:95], v[118:119], v[94:95]
	v_fma_f64 v[104:105], v[84:85], s[4:5], v[136:137]
	v_mul_f64 v[118:119], v[88:89], s[0:1]
	v_add_f64 v[96:97], v[96:97], v[18:19]
	v_fma_f64 v[18:19], v[48:49], s[36:37], v[120:121]
	v_fma_f64 v[120:121], v[48:49], s[16:17], v[120:121]
	v_mul_f64 v[88:89], v[88:89], s[10:11]
	v_mul_f64 v[152:153], v[58:59], s[12:13]
	v_add_f64 v[20:21], v[34:35], v[20:21]
	v_fma_f64 v[34:35], v[84:85], s[4:5], -v[136:137]
	v_add_f64 v[32:33], v[32:33], v[112:113]
	v_mul_f64 v[42:43], v[60:61], s[22:23]
	v_add_f64 v[98:99], v[122:123], v[98:99]
	v_fma_f64 v[122:123], v[84:85], s[12:13], v[90:91]
	v_fma_f64 v[90:91], v[84:85], s[12:13], -v[90:91]
	v_add_f64 v[44:45], v[110:111], v[44:45]
	v_fma_f64 v[110:111], v[48:49], s[44:45], v[92:93]
	v_fma_f64 v[48:49], v[48:49], s[22:23], v[92:93]
	v_add_f64 v[30:31], v[30:31], v[100:101]
	v_add_f64 v[28:29], v[40:41], v[28:29]
	v_mul_f64 v[40:41], v[70:71], s[18:19]
	v_mul_f64 v[140:141], v[58:59], s[10:11]
	;; [unrolled: 1-line block ×3, first 2 shown]
	v_fma_f64 v[92:93], v[56:57], s[18:19], v[144:145]
	v_fma_f64 v[84:85], v[82:83], s[24:25], v[118:119]
	;; [unrolled: 1-line block ×3, first 2 shown]
	v_add_f64 v[14:15], v[18:19], v[14:15]
	v_add_f64 v[18:19], v[104:105], v[116:117]
	v_fma_f64 v[104:105], v[76:77], s[0:1], v[146:147]
	v_mul_f64 v[116:117], v[78:79], s[18:19]
	v_add_f64 v[102:103], v[120:121], v[102:103]
	v_mul_f64 v[120:121], v[80:81], s[28:29]
	v_add_f64 v[34:35], v[34:35], v[114:115]
	v_fma_f64 v[146:147], v[76:77], s[0:1], -v[146:147]
	v_mul_f64 v[78:79], v[78:79], s[0:1]
	v_add_f64 v[122:123], v[122:123], v[132:133]
	v_fma_f64 v[132:133], v[76:77], s[10:11], v[86:87]
	v_mul_f64 v[80:81], v[80:81], s[24:25]
	v_add_f64 v[110:111], v[110:111], v[126:127]
	v_fma_f64 v[126:127], v[82:83], s[40:41], v[88:89]
	v_add_f64 v[38:39], v[48:49], v[38:39]
	v_fma_f64 v[82:83], v[82:83], s[26:27], v[88:89]
	v_add_f64 v[36:37], v[90:91], v[36:37]
	v_fma_f64 v[86:87], v[76:77], s[10:11], -v[86:87]
	v_add_f64 v[12:13], v[12:13], v[30:31]
	v_fma_f64 v[30:31], v[74:75], s[36:37], v[128:129]
	v_mul_f64 v[88:89], v[70:71], s[12:13]
	v_mul_f64 v[90:91], v[72:73], s[22:23]
	v_add_f64 v[14:15], v[84:85], v[14:15]
	v_mul_f64 v[70:71], v[70:71], s[6:7]
	v_add_f64 v[18:19], v[104:105], v[18:19]
	v_fma_f64 v[76:77], v[74:75], s[42:43], v[116:117]
	v_add_f64 v[102:103], v[118:119], v[102:103]
	v_fma_f64 v[84:85], v[68:69], s[18:19], v[120:121]
	v_fma_f64 v[104:105], v[74:75], s[28:29], v[116:117]
	v_add_f64 v[34:35], v[146:147], v[34:35]
	v_fma_f64 v[112:113], v[68:69], s[18:19], -v[120:121]
	v_fma_f64 v[118:119], v[74:75], s[30:31], v[78:79]
	v_add_f64 v[116:117], v[132:133], v[122:123]
	v_fma_f64 v[120:121], v[68:69], s[0:1], v[80:81]
	v_mul_f64 v[72:73], v[72:73], s[20:21]
	v_add_f64 v[110:111], v[126:127], v[110:111]
	v_fma_f64 v[74:75], v[74:75], s[24:25], v[78:79]
	v_add_f64 v[38:39], v[82:83], v[38:39]
	v_fma_f64 v[78:79], v[68:69], s[0:1], -v[80:81]
	v_add_f64 v[36:37], v[86:87], v[36:37]
	v_add_f64 v[26:27], v[26:27], v[32:33]
	;; [unrolled: 1-line block ×3, first 2 shown]
	v_fma_f64 v[30:31], v[68:69], s[4:5], -v[130:131]
	v_fma_f64 v[100:101], v[62:63], s[42:43], v[40:41]
	v_mul_f64 v[114:115], v[58:59], s[0:1]
	v_fma_f64 v[32:33], v[62:63], s[28:29], v[40:41]
	v_fma_f64 v[40:41], v[62:63], s[44:45], v[88:89]
	v_add_f64 v[14:15], v[76:77], v[14:15]
	v_fma_f64 v[68:69], v[56:57], s[12:13], v[90:91]
	v_add_f64 v[18:19], v[84:85], v[18:19]
	v_mul_f64 v[76:77], v[58:59], s[6:7]
	v_add_f64 v[82:83], v[104:105], v[102:103]
	v_add_f64 v[34:35], v[112:113], v[34:35]
	v_fma_f64 v[84:85], v[62:63], s[22:23], v[88:89]
	v_fma_f64 v[86:87], v[56:57], s[12:13], -v[90:91]
	v_add_f64 v[90:91], v[120:121], v[116:117]
	v_fma_f64 v[102:103], v[62:63], s[38:39], v[70:71]
	v_add_f64 v[88:89], v[118:119], v[110:111]
	v_fma_f64 v[104:105], v[56:57], s[6:7], v[72:73]
	v_mul_f64 v[58:59], v[58:59], s[4:5]
	v_add_f64 v[38:39], v[74:75], v[38:39]
	v_fma_f64 v[62:63], v[62:63], s[20:21], v[70:71]
	v_mul_f64 v[80:81], v[60:61], s[20:21]
	v_mul_f64 v[48:49], v[60:61], s[24:25]
	v_mul_f64 v[60:61], v[60:61], s[16:17]
	v_add_f64 v[36:37], v[78:79], v[36:37]
	v_fma_f64 v[70:71], v[56:57], s[6:7], -v[72:73]
	v_add_f64 v[26:27], v[30:31], v[26:27]
	v_fma_f64 v[30:31], v[56:57], s[18:19], -v[144:145]
	v_fma_f64 v[134:135], v[54:55], s[44:45], v[152:153]
	v_fma_f64 v[138:139], v[52:53], s[12:13], v[42:43]
	;; [unrolled: 1-line block ×6, first 2 shown]
	v_add_f64 v[44:45], v[100:101], v[44:45]
	v_add_f64 v[56:57], v[92:93], v[98:99]
	v_fma_f64 v[74:75], v[54:55], s[30:31], v[114:115]
	v_fma_f64 v[98:99], v[54:55], s[24:25], v[114:115]
	;; [unrolled: 1-line block ×3, first 2 shown]
	v_add_f64 v[82:83], v[84:85], v[82:83]
	v_add_f64 v[84:85], v[86:87], v[34:35]
	v_fma_f64 v[76:77], v[54:55], s[20:21], v[76:77]
	v_add_f64 v[86:87], v[102:103], v[88:89]
	v_add_f64 v[88:89], v[104:105], v[90:91]
	v_fma_f64 v[90:91], v[54:55], s[36:37], v[58:59]
	v_add_f64 v[62:63], v[62:63], v[38:39]
	v_fma_f64 v[54:55], v[54:55], s[16:17], v[58:59]
	v_add_f64 v[40:41], v[40:41], v[14:15]
	v_add_f64 v[68:69], v[68:69], v[18:19]
	v_fma_f64 v[110:111], v[52:53], s[6:7], v[80:81]
	v_fma_f64 v[78:79], v[52:53], s[0:1], v[48:49]
	;; [unrolled: 1-line block ×3, first 2 shown]
	v_fma_f64 v[58:59], v[52:53], s[4:5], -v[60:61]
	v_fma_f64 v[60:61], v[52:53], s[6:7], -v[80:81]
	v_add_f64 v[92:93], v[32:33], v[12:13]
	v_add_f64 v[36:37], v[70:71], v[36:37]
	;; [unrolled: 1-line block ×3, first 2 shown]
	v_fma_f64 v[80:81], v[52:53], s[0:1], -v[48:49]
	v_fma_f64 v[104:105], v[52:53], s[10:11], -v[142:143]
	;; [unrolled: 1-line block ×3, first 2 shown]
	v_add_f64 v[12:13], v[134:135], v[22:23]
	v_add_f64 v[14:15], v[138:139], v[24:25]
	;; [unrolled: 1-line block ×3, first 2 shown]
	v_and_b32_e32 v28, 0xff, v106
	v_add_f64 v[22:23], v[148:149], v[50:51]
	v_add_f64 v[24:25], v[136:137], v[94:95]
	;; [unrolled: 1-line block ×5, first 2 shown]
	v_mul_lo_u16 v54, 0x4f, v28
	v_add_f64 v[38:39], v[100:101], v[40:41]
	v_add_f64 v[40:41], v[110:111], v[68:69]
	;; [unrolled: 1-line block ×4, first 2 shown]
	v_lshrrev_b16 v111, 10, v54
	v_add_f64 v[44:45], v[60:61], v[84:85]
	v_add_f64 v[34:35], v[98:99], v[92:93]
	;; [unrolled: 1-line block ×8, first 2 shown]
	v_mad_u32_u24 v110, 0xd0, v106, 0
	v_mul_lo_u16 v16, v111, 13
	v_add_f64 v[20:21], v[112:113], v[124:125]
	s_load_dwordx2 s[34:35], s[34:35], 0x0
	ds_write_b128 v110, v[4:7]
	ds_write_b128 v110, v[0:3] offset:16
	ds_write_b128 v110, v[12:15] offset:32
	;; [unrolled: 1-line block ×3, first 2 shown]
	v_sub_nc_u16 v112, v106, v16
	v_mov_b32_e32 v0, 12
	ds_write_b128 v110, v[30:33] offset:64
	ds_write_b128 v110, v[38:41] offset:80
	;; [unrolled: 1-line block ×4, first 2 shown]
	v_mul_u32_u24_sdwa v0, v112, v0 dst_sel:DWORD dst_unused:UNUSED_PAD src0_sel:BYTE_0 src1_sel:DWORD
	ds_write_b128 v110, v[42:45] offset:128
	ds_write_b128 v110, v[34:37] offset:144
	ds_write_b128 v110, v[26:29] offset:160
	ds_write_b128 v110, v[18:21] offset:176
	ds_write_b128 v110, v[8:11] offset:192
	s_waitcnt lgkmcnt(0)
	v_lshlrev_b32_e32 v0, 4, v0
	s_barrier
	buffer_gl0_inv
	s_clause 0xb
	global_load_dwordx4 v[6:9], v0, s[8:9]
	global_load_dwordx4 v[10:13], v0, s[8:9] offset:176
	global_load_dwordx4 v[14:17], v0, s[8:9] offset:16
	global_load_dwordx4 v[18:21], v0, s[8:9] offset:32
	global_load_dwordx4 v[22:25], v0, s[8:9] offset:48
	global_load_dwordx4 v[26:29], v0, s[8:9] offset:160
	global_load_dwordx4 v[30:33], v0, s[8:9] offset:64
	global_load_dwordx4 v[34:37], v0, s[8:9] offset:128
	global_load_dwordx4 v[38:41], v0, s[8:9] offset:144
	global_load_dwordx4 v[42:45], v0, s[8:9] offset:80
	global_load_dwordx4 v[46:49], v0, s[8:9] offset:96
	global_load_dwordx4 v[50:53], v0, s[8:9] offset:112
	v_lshl_add_u32 v115, v108, 4, 0
	v_mad_i32_i24 v114, 0xffffff40, v106, v110
	v_lshl_add_u32 v116, v109, 4, 0
	v_lshl_add_u32 v113, v107, 4, 0
	ds_read_b128 v[54:57], v115
	ds_read_b128 v[58:61], v114 offset:9984
	ds_read_b128 v[68:71], v116
	ds_read_b128 v[72:75], v113
	ds_read_b128 v[76:79], v114 offset:3328
	ds_read_b128 v[80:83], v114 offset:9152
	ds_read_b128 v[88:91], v114 offset:4160
	ds_read_b128 v[96:99], v114 offset:7488
	ds_read_b128 v[100:103], v114 offset:8320
	ds_read_b128 v[117:120], v114 offset:4992
	ds_read_b128 v[121:124], v114 offset:5824
	ds_read_b128 v[125:128], v114 offset:6656
	ds_read_b128 v[0:3], v114
	s_waitcnt vmcnt(0) lgkmcnt(0)
	s_barrier
	buffer_gl0_inv
	v_mul_f64 v[4:5], v[54:55], v[8:9]
	v_mul_f64 v[62:63], v[58:59], v[12:13]
	;; [unrolled: 1-line block ×22, first 2 shown]
	v_fma_f64 v[56:57], v[56:57], v[6:7], v[4:5]
	v_fma_f64 v[4:5], v[60:61], v[10:11], v[62:63]
	v_fma_f64 v[60:61], v[54:55], v[6:7], -v[8:9]
	v_fma_f64 v[6:7], v[58:59], v[10:11], -v[12:13]
	;; [unrolled: 1-line block ×3, first 2 shown]
	v_fma_f64 v[92:93], v[70:71], v[14:15], v[16:17]
	v_fma_f64 v[8:9], v[82:83], v[26:27], v[129:130]
	v_mul_f64 v[141:142], v[125:126], v[52:53]
	v_mul_f64 v[143:144], v[127:128], v[52:53]
	v_fma_f64 v[14:15], v[100:101], v[38:39], -v[40:41]
	v_fma_f64 v[86:87], v[72:73], v[18:19], -v[86:87]
	v_fma_f64 v[84:85], v[74:75], v[18:19], v[20:21]
	v_fma_f64 v[10:11], v[80:81], v[26:27], -v[28:29]
	v_fma_f64 v[12:13], v[102:103], v[38:39], v[135:136]
	v_fma_f64 v[16:17], v[98:99], v[34:35], v[133:134]
	v_fma_f64 v[70:71], v[88:89], v[30:31], -v[131:132]
	v_fma_f64 v[62:63], v[90:91], v[30:31], v[32:33]
	v_fma_f64 v[18:19], v[96:97], v[34:35], -v[36:37]
	v_fma_f64 v[54:55], v[117:118], v[42:43], -v[137:138]
	v_fma_f64 v[30:31], v[123:124], v[46:47], v[48:49]
	v_fma_f64 v[82:83], v[76:77], v[22:23], -v[104:105]
	v_fma_f64 v[80:81], v[78:79], v[22:23], v[24:25]
	v_add_f64 v[96:97], v[2:3], v[56:57]
	v_add_f64 v[100:101], v[56:57], -v[4:5]
	v_add_f64 v[98:99], v[0:1], v[60:61]
	v_add_f64 v[102:103], v[60:61], -v[6:7]
	v_add_f64 v[90:91], v[60:61], v[6:7]
	v_fma_f64 v[52:53], v[119:120], v[42:43], v[44:45]
	v_add_f64 v[48:49], v[92:93], -v[8:9]
	v_fma_f64 v[20:21], v[127:128], v[50:51], v[141:142]
	v_fma_f64 v[22:23], v[125:126], v[50:51], -v[143:144]
	v_fma_f64 v[28:29], v[121:122], v[46:47], -v[139:140]
	v_add_f64 v[88:89], v[56:57], v[4:5]
	v_add_f64 v[24:25], v[92:93], v[8:9]
	;; [unrolled: 1-line block ×3, first 2 shown]
	v_add_f64 v[50:51], v[94:95], -v[10:11]
	v_add_f64 v[32:33], v[84:85], -v[12:13]
	;; [unrolled: 1-line block ×3, first 2 shown]
	v_add_f64 v[42:43], v[86:87], v[14:15]
	v_add_f64 v[40:41], v[84:85], v[12:13]
	;; [unrolled: 1-line block ×3, first 2 shown]
	v_add_f64 v[44:45], v[80:81], -v[16:17]
	v_add_f64 v[92:93], v[96:97], v[92:93]
	v_mul_f64 v[117:118], v[100:101], s[44:45]
	v_mul_f64 v[119:120], v[100:101], s[30:31]
	;; [unrolled: 1-line block ×11, first 2 shown]
	v_add_f64 v[94:95], v[98:99], v[94:95]
	v_mul_f64 v[137:138], v[102:103], s[26:27]
	v_mul_f64 v[139:140], v[102:103], s[42:43]
	;; [unrolled: 1-line block ×7, first 2 shown]
	v_add_f64 v[46:47], v[82:83], -v[18:19]
	v_add_f64 v[38:39], v[80:81], v[16:17]
	v_add_f64 v[84:85], v[92:93], v[84:85]
	v_fma_f64 v[169:170], v[90:91], s[12:13], -v[117:118]
	v_fma_f64 v[117:118], v[90:91], s[12:13], v[117:118]
	v_fma_f64 v[171:172], v[90:91], s[0:1], -v[119:120]
	v_fma_f64 v[119:120], v[90:91], s[0:1], v[119:120]
	;; [unrolled: 2-line block ×3, first 2 shown]
	v_fma_f64 v[121:122], v[90:91], s[4:5], v[121:122]
	v_fma_f64 v[123:124], v[88:89], s[12:13], -v[123:124]
	v_fma_f64 v[177:178], v[90:91], s[6:7], -v[125:126]
	v_fma_f64 v[179:180], v[88:89], s[0:1], v[127:128]
	v_fma_f64 v[125:126], v[90:91], s[6:7], v[125:126]
	v_fma_f64 v[127:128], v[88:89], s[0:1], -v[127:128]
	v_add_f64 v[86:87], v[94:95], v[86:87]
	v_fma_f64 v[94:95], v[90:91], s[10:11], -v[129:130]
	v_fma_f64 v[181:182], v[88:89], s[4:5], v[133:134]
	v_fma_f64 v[129:130], v[90:91], s[10:11], v[129:130]
	v_fma_f64 v[133:134], v[88:89], s[4:5], -v[133:134]
	v_fma_f64 v[183:184], v[90:91], s[18:19], -v[131:132]
	v_fma_f64 v[185:186], v[88:89], s[6:7], v[135:136]
	v_fma_f64 v[90:91], v[90:91], s[18:19], v[131:132]
	v_fma_f64 v[92:93], v[88:89], s[6:7], -v[135:136]
	v_fma_f64 v[131:132], v[26:27], s[0:1], -v[141:142]
	v_add_f64 v[135:136], v[0:1], v[169:170]
	v_mul_f64 v[145:146], v[32:33], s[36:37]
	v_mul_f64 v[147:148], v[34:35], s[36:37]
	;; [unrolled: 1-line block ×5, first 2 shown]
	v_fma_f64 v[169:170], v[88:89], s[10:11], v[137:138]
	v_fma_f64 v[137:138], v[88:89], s[10:11], -v[137:138]
	v_fma_f64 v[187:188], v[24:25], s[0:1], v[143:144]
	v_add_f64 v[175:176], v[2:3], v[175:176]
	v_fma_f64 v[189:190], v[88:89], s[18:19], v[139:140]
	v_fma_f64 v[88:89], v[88:89], s[18:19], -v[139:140]
	v_fma_f64 v[139:140], v[26:27], s[0:1], v[141:142]
	v_fma_f64 v[141:142], v[24:25], s[0:1], -v[143:144]
	v_fma_f64 v[143:144], v[26:27], s[6:7], -v[155:156]
	v_add_f64 v[82:83], v[86:87], v[82:83]
	v_fma_f64 v[86:87], v[24:25], s[6:7], v[98:99]
	v_add_f64 v[123:124], v[2:3], v[123:124]
	v_fma_f64 v[155:156], v[26:27], s[6:7], v[155:156]
	v_fma_f64 v[98:99], v[24:25], s[6:7], -v[98:99]
	v_add_f64 v[171:172], v[0:1], v[171:172]
	v_add_f64 v[179:180], v[2:3], v[179:180]
	;; [unrolled: 1-line block ×3, first 2 shown]
	v_fma_f64 v[84:85], v[26:27], s[18:19], -v[96:97]
	v_add_f64 v[119:120], v[0:1], v[119:120]
	v_add_f64 v[127:128], v[2:3], v[127:128]
	;; [unrolled: 1-line block ×3, first 2 shown]
	v_fma_f64 v[135:136], v[24:25], s[18:19], v[163:164]
	v_add_f64 v[173:174], v[0:1], v[173:174]
	v_fma_f64 v[96:97], v[26:27], s[18:19], v[96:97]
	v_fma_f64 v[163:164], v[24:25], s[18:19], -v[163:164]
	v_add_f64 v[121:122], v[0:1], v[121:122]
	v_add_f64 v[133:134], v[2:3], v[133:134]
	v_mul_f64 v[149:150], v[44:45], s[20:21]
	v_mul_f64 v[151:152], v[46:47], s[20:21]
	;; [unrolled: 1-line block ×3, first 2 shown]
	v_add_f64 v[117:118], v[0:1], v[117:118]
	v_add_f64 v[181:182], v[2:3], v[181:182]
	;; [unrolled: 1-line block ×4, first 2 shown]
	v_fma_f64 v[141:142], v[24:25], s[10:11], v[167:168]
	v_add_f64 v[185:186], v[2:3], v[185:186]
	v_add_f64 v[143:144], v[143:144], v[171:172]
	v_mul_f64 v[171:172], v[32:33], s[38:39]
	v_add_f64 v[86:87], v[86:87], v[179:180]
	v_mul_f64 v[179:180], v[34:35], s[38:39]
	v_add_f64 v[119:120], v[155:156], v[119:120]
	v_fma_f64 v[155:156], v[42:43], s[4:5], -v[145:146]
	v_add_f64 v[98:99], v[98:99], v[127:128]
	v_add_f64 v[68:69], v[70:71], -v[22:23]
	v_add_f64 v[84:85], v[84:85], v[173:174]
	v_fma_f64 v[173:174], v[40:41], s[4:5], v[147:148]
	v_add_f64 v[60:61], v[62:63], -v[20:21]
	v_add_f64 v[96:97], v[96:97], v[121:122]
	v_fma_f64 v[121:122], v[42:43], s[18:19], -v[157:158]
	v_add_f64 v[133:134], v[163:164], v[133:134]
	v_fma_f64 v[163:164], v[40:41], s[18:19], v[159:160]
	v_fma_f64 v[157:158], v[42:43], s[18:19], v[157:158]
	v_fma_f64 v[159:160], v[40:41], s[18:19], -v[159:160]
	v_add_f64 v[56:57], v[70:71], v[22:23]
	v_add_f64 v[58:59], v[62:63], v[20:21]
	v_mul_f64 v[161:162], v[44:45], s[40:41]
	v_mul_f64 v[187:188], v[46:47], s[40:41]
	v_add_f64 v[117:118], v[139:140], v[117:118]
	v_fma_f64 v[139:140], v[26:27], s[10:11], -v[165:166]
	v_add_f64 v[177:178], v[0:1], v[177:178]
	v_add_f64 v[135:136], v[135:136], v[181:182]
	v_mul_f64 v[181:182], v[34:35], s[22:23]
	v_fma_f64 v[145:146], v[42:43], s[4:5], v[145:146]
	v_fma_f64 v[147:148], v[40:41], s[4:5], -v[147:148]
	v_add_f64 v[141:142], v[141:142], v[185:186]
	v_fma_f64 v[185:186], v[42:43], s[6:7], -v[171:172]
	v_add_f64 v[70:71], v[82:83], v[70:71]
	v_add_f64 v[62:63], v[80:81], v[62:63]
	v_fma_f64 v[80:81], v[40:41], s[6:7], v[179:180]
	v_add_f64 v[131:132], v[155:156], v[131:132]
	v_fma_f64 v[171:172], v[42:43], s[6:7], v[171:172]
	v_fma_f64 v[179:180], v[40:41], s[6:7], -v[179:180]
	v_add_f64 v[173:174], v[173:174], v[175:176]
	v_add_f64 v[121:122], v[121:122], v[143:144]
	v_mul_f64 v[143:144], v[44:45], s[22:23]
	v_add_f64 v[86:87], v[163:164], v[86:87]
	v_mul_f64 v[163:164], v[46:47], s[22:23]
	v_add_f64 v[119:120], v[157:158], v[119:120]
	v_fma_f64 v[157:158], v[36:37], s[6:7], -v[149:150]
	v_add_f64 v[98:99], v[159:160], v[98:99]
	v_fma_f64 v[159:160], v[38:39], s[6:7], v[151:152]
	v_mul_f64 v[102:103], v[68:69], s[26:27]
	v_mul_f64 v[127:128], v[32:33], s[22:23]
	v_add_f64 v[76:77], v[52:53], -v[30:31]
	v_add_f64 v[74:75], v[54:55], v[28:29]
	v_add_f64 v[78:79], v[54:55], -v[28:29]
	v_add_f64 v[72:73], v[52:53], v[30:31]
	v_mul_f64 v[153:154], v[60:61], s[26:27]
	v_add_f64 v[139:140], v[139:140], v[177:178]
	v_mul_f64 v[177:178], v[60:61], s[16:17]
	v_mul_f64 v[82:83], v[68:69], s[16:17]
	v_add_f64 v[117:118], v[145:146], v[117:118]
	v_fma_f64 v[145:146], v[40:41], s[12:13], v[181:182]
	v_add_f64 v[123:124], v[147:148], v[123:124]
	v_add_f64 v[84:85], v[185:186], v[84:85]
	v_fma_f64 v[149:150], v[36:37], s[6:7], v[149:150]
	v_add_f64 v[80:81], v[80:81], v[135:136]
	v_fma_f64 v[151:152], v[38:39], s[6:7], -v[151:152]
	v_add_f64 v[96:97], v[171:172], v[96:97]
	v_fma_f64 v[171:172], v[36:37], s[10:11], -v[161:162]
	v_add_f64 v[133:134], v[179:180], v[133:134]
	v_fma_f64 v[179:180], v[38:39], s[10:11], v[187:188]
	v_add_f64 v[70:71], v[70:71], v[54:55]
	v_add_f64 v[62:63], v[62:63], v[52:53]
	v_fma_f64 v[52:53], v[36:37], s[12:13], -v[143:144]
	v_add_f64 v[54:55], v[157:158], v[131:132]
	v_add_f64 v[157:158], v[159:160], v[173:174]
	v_fma_f64 v[159:160], v[38:39], s[12:13], v[163:164]
	v_fma_f64 v[175:176], v[42:43], s[12:13], -v[127:128]
	v_mul_f64 v[185:186], v[44:45], s[36:37]
	v_fma_f64 v[173:174], v[58:59], s[10:11], v[102:103]
	v_mul_f64 v[100:101], v[76:77], s[42:43]
	v_mul_f64 v[104:105], v[78:79], s[42:43]
	;; [unrolled: 1-line block ×4, first 2 shown]
	v_add_f64 v[141:142], v[145:146], v[141:142]
	v_mul_f64 v[145:146], v[68:69], s[30:31]
	v_fma_f64 v[161:162], v[36:37], s[10:11], v[161:162]
	v_add_f64 v[117:118], v[149:150], v[117:118]
	v_mul_f64 v[149:150], v[48:49], s[16:17]
	v_add_f64 v[123:124], v[151:152], v[123:124]
	v_fma_f64 v[151:152], v[56:57], s[10:11], -v[153:154]
	v_add_f64 v[121:122], v[171:172], v[121:122]
	v_add_f64 v[86:87], v[179:180], v[86:87]
	v_mul_f64 v[179:180], v[48:49], s[22:23]
	v_fma_f64 v[48:49], v[56:57], s[10:11], v[153:154]
	v_fma_f64 v[102:103], v[58:59], s[10:11], -v[102:103]
	v_add_f64 v[84:85], v[52:53], v[84:85]
	v_fma_f64 v[52:53], v[56:57], s[4:5], -v[177:178]
	v_add_f64 v[80:81], v[159:160], v[80:81]
	v_fma_f64 v[159:160], v[58:59], s[4:5], v[82:83]
	v_add_f64 v[139:140], v[175:176], v[139:140]
	v_mul_f64 v[175:176], v[60:61], s[30:31]
	v_mul_f64 v[191:192], v[60:61], s[28:29]
	v_fma_f64 v[165:166], v[26:27], s[10:11], v[165:166]
	v_add_f64 v[157:158], v[173:174], v[157:158]
	v_fma_f64 v[173:174], v[36:37], s[4:5], -v[185:186]
	v_add_f64 v[125:126], v[0:1], v[125:126]
	v_mul_f64 v[155:156], v[76:77], s[22:23]
	v_fma_f64 v[187:188], v[38:39], s[10:11], -v[187:188]
	v_fma_f64 v[143:144], v[36:37], s[12:13], v[143:144]
	v_mul_f64 v[171:172], v[50:51], s[16:17]
	v_mul_f64 v[153:154], v[50:51], s[22:23]
	v_add_f64 v[119:120], v[161:162], v[119:120]
	v_fma_f64 v[50:51], v[74:75], s[18:19], -v[100:101]
	v_fma_f64 v[161:162], v[72:73], s[18:19], v[104:105]
	v_fma_f64 v[100:101], v[74:75], s[18:19], v[100:101]
	v_fma_f64 v[104:105], v[72:73], s[18:19], -v[104:105]
	v_fma_f64 v[163:164], v[38:39], s[12:13], -v[163:164]
	v_add_f64 v[54:55], v[151:152], v[54:55]
	v_fma_f64 v[151:152], v[72:73], s[12:13], v[147:148]
	v_add_f64 v[117:118], v[48:49], v[117:118]
	v_fma_f64 v[48:49], v[38:39], s[4:5], v[135:136]
	v_fma_f64 v[177:178], v[56:57], s[4:5], v[177:178]
	v_add_f64 v[102:103], v[102:103], v[123:124]
	v_add_f64 v[52:53], v[52:53], v[121:122]
	v_fma_f64 v[121:122], v[58:59], s[0:1], v[145:146]
	v_add_f64 v[86:87], v[159:160], v[86:87]
	v_fma_f64 v[123:124], v[56:57], s[0:1], -v[175:176]
	v_fma_f64 v[159:160], v[56:57], s[18:19], -v[191:192]
	v_fma_f64 v[127:128], v[42:43], s[12:13], v[127:128]
	v_add_f64 v[139:140], v[173:174], v[139:140]
	v_add_f64 v[125:126], v[165:166], v[125:126]
	;; [unrolled: 1-line block ×4, first 2 shown]
	v_mul_f64 v[131:132], v[68:69], s[28:29]
	v_add_f64 v[98:99], v[187:188], v[98:99]
	v_add_f64 v[96:97], v[143:144], v[96:97]
	v_fma_f64 v[143:144], v[74:75], s[12:13], -v[155:156]
	v_fma_f64 v[82:83], v[58:59], s[4:5], -v[82:83]
	v_add_f64 v[92:93], v[2:3], v[92:93]
	v_fma_f64 v[145:146], v[58:59], s[0:1], -v[145:146]
	v_add_f64 v[133:134], v[163:164], v[133:134]
	v_add_f64 v[94:95], v[0:1], v[94:95]
	v_add_f64 v[169:170], v[2:3], v[169:170]
	v_add_f64 v[129:130], v[0:1], v[129:130]
	v_add_f64 v[137:138], v[2:3], v[137:138]
	v_add_f64 v[183:184], v[0:1], v[183:184]
	v_add_f64 v[187:188], v[2:3], v[189:190]
	v_add_f64 v[90:91], v[0:1], v[90:91]
	v_add_f64 v[88:89], v[2:3], v[88:89]
	v_add_f64 v[141:142], v[48:49], v[141:142]
	v_add_f64 v[48:49], v[50:51], v[54:55]
	v_add_f64 v[0:1], v[100:101], v[117:118]
	v_add_f64 v[2:3], v[104:105], v[102:103]
	v_add_f64 v[54:55], v[151:152], v[86:87]
	v_add_f64 v[86:87], v[177:178], v[119:120]
	v_add_f64 v[62:63], v[121:122], v[80:81]
	v_fma_f64 v[80:81], v[26:27], s[4:5], -v[149:150]
	v_fma_f64 v[100:101], v[24:25], s[4:5], v[171:172]
	v_mul_f64 v[102:103], v[32:33], s[30:31]
	v_mul_f64 v[117:118], v[34:35], s[30:31]
	v_fma_f64 v[119:120], v[26:27], s[4:5], v[149:150]
	v_add_f64 v[84:85], v[123:124], v[84:85]
	v_add_f64 v[104:105], v[159:160], v[139:140]
	v_fma_f64 v[123:124], v[26:27], s[12:13], -v[179:180]
	v_add_f64 v[125:126], v[127:128], v[125:126]
	v_fma_f64 v[127:128], v[24:25], s[12:13], v[153:154]
	v_fma_f64 v[26:27], v[26:27], s[12:13], v[179:180]
	v_mul_f64 v[32:33], v[32:33], s[26:27]
	v_fma_f64 v[139:140], v[24:25], s[12:13], -v[153:154]
	v_mul_f64 v[34:35], v[34:35], s[26:27]
	v_fma_f64 v[167:168], v[24:25], s[10:11], -v[167:168]
	v_add_f64 v[22:23], v[28:29], v[22:23]
	v_add_f64 v[20:21], v[30:31], v[20:21]
	v_fma_f64 v[24:25], v[24:25], s[4:5], -v[171:172]
	v_fma_f64 v[163:164], v[58:59], s[18:19], v[131:132]
	v_add_f64 v[52:53], v[143:144], v[52:53]
	v_add_f64 v[82:83], v[82:83], v[98:99]
	;; [unrolled: 1-line block ×3, first 2 shown]
	v_fma_f64 v[30:31], v[72:73], s[12:13], -v[147:148]
	v_add_f64 v[80:81], v[80:81], v[94:95]
	v_add_f64 v[100:101], v[100:101], v[169:170]
	v_fma_f64 v[143:144], v[42:43], s[0:1], -v[102:103]
	v_fma_f64 v[145:146], v[40:41], s[0:1], v[117:118]
	v_add_f64 v[119:120], v[119:120], v[129:130]
	v_mul_f64 v[129:130], v[44:45], s[28:29]
	v_mul_f64 v[147:148], v[46:47], s[28:29]
	v_add_f64 v[123:124], v[123:124], v[183:184]
	v_add_f64 v[127:128], v[127:128], v[187:188]
	v_fma_f64 v[102:103], v[42:43], s[0:1], v[102:103]
	v_add_f64 v[26:27], v[26:27], v[90:91]
	v_fma_f64 v[90:91], v[42:43], s[10:11], -v[32:33]
	v_add_f64 v[88:89], v[139:140], v[88:89]
	v_fma_f64 v[139:140], v[40:41], s[10:11], v[34:35]
	v_mul_f64 v[44:45], v[44:45], s[24:25]
	v_mul_f64 v[46:47], v[46:47], s[24:25]
	v_fma_f64 v[32:33], v[42:43], s[10:11], v[32:33]
	v_fma_f64 v[34:35], v[40:41], s[10:11], -v[34:35]
	v_fma_f64 v[181:182], v[40:41], s[12:13], -v[181:182]
	v_add_f64 v[92:93], v[167:168], v[92:93]
	v_add_f64 v[18:19], v[22:23], v[18:19]
	;; [unrolled: 1-line block ×4, first 2 shown]
	v_fma_f64 v[22:23], v[40:41], s[0:1], -v[117:118]
	v_fma_f64 v[175:176], v[56:57], s[0:1], v[175:176]
	v_add_f64 v[121:122], v[163:164], v[141:142]
	v_fma_f64 v[141:142], v[36:37], s[4:5], v[185:186]
	v_add_f64 v[24:25], v[143:144], v[80:81]
	v_add_f64 v[40:41], v[145:146], v[100:101]
	v_fma_f64 v[80:81], v[36:37], s[18:19], -v[129:130]
	v_fma_f64 v[100:101], v[38:39], s[18:19], v[147:148]
	v_mul_f64 v[117:118], v[60:61], s[22:23]
	v_mul_f64 v[137:138], v[68:69], s[22:23]
	v_add_f64 v[102:103], v[102:103], v[119:120]
	v_fma_f64 v[119:120], v[36:37], s[18:19], v[129:130]
	v_add_f64 v[90:91], v[90:91], v[123:124]
	v_add_f64 v[123:124], v[139:140], v[127:128]
	v_fma_f64 v[127:128], v[36:37], s[0:1], -v[44:45]
	v_fma_f64 v[129:130], v[38:39], s[0:1], v[46:47]
	v_mul_f64 v[60:61], v[60:61], s[20:21]
	v_mul_f64 v[68:69], v[68:69], s[20:21]
	v_add_f64 v[26:27], v[32:33], v[26:27]
	v_add_f64 v[32:33], v[34:35], v[88:89]
	v_fma_f64 v[34:35], v[36:37], s[0:1], v[44:45]
	v_fma_f64 v[36:37], v[38:39], s[0:1], -v[46:47]
	v_add_f64 v[92:93], v[181:182], v[92:93]
	v_fma_f64 v[44:45], v[38:39], s[4:5], -v[135:136]
	v_add_f64 v[14:15], v[18:19], v[14:15]
	v_add_f64 v[18:19], v[22:23], v[20:21]
	v_fma_f64 v[20:21], v[38:39], s[18:19], -v[147:148]
	v_add_f64 v[12:13], v[16:17], v[12:13]
	v_add_f64 v[70:71], v[175:176], v[96:97]
	v_mul_f64 v[96:97], v[76:77], s[26:27]
	v_mul_f64 v[133:134], v[78:79], s[26:27]
	;; [unrolled: 1-line block ×3, first 2 shown]
	v_add_f64 v[125:126], v[141:142], v[125:126]
	v_mul_f64 v[141:142], v[78:79], s[24:25]
	v_fma_f64 v[46:47], v[56:57], s[18:19], v[191:192]
	v_add_f64 v[16:17], v[80:81], v[24:25]
	v_add_f64 v[22:23], v[100:101], v[40:41]
	v_fma_f64 v[24:25], v[56:57], s[12:13], -v[117:118]
	v_fma_f64 v[38:39], v[58:59], s[12:13], v[137:138]
	v_mul_f64 v[40:41], v[76:77], s[20:21]
	v_mul_f64 v[80:81], v[78:79], s[20:21]
	v_add_f64 v[88:89], v[119:120], v[102:103]
	v_fma_f64 v[100:101], v[56:57], s[12:13], v[117:118]
	v_add_f64 v[90:91], v[127:128], v[90:91]
	v_add_f64 v[102:103], v[129:130], v[123:124]
	v_fma_f64 v[117:118], v[56:57], s[6:7], -v[60:61]
	v_fma_f64 v[119:120], v[58:59], s[6:7], v[68:69]
	v_mul_f64 v[76:77], v[76:77], s[16:17]
	v_mul_f64 v[78:79], v[78:79], s[16:17]
	v_add_f64 v[26:27], v[34:35], v[26:27]
	v_add_f64 v[32:33], v[36:37], v[32:33]
	v_fma_f64 v[34:35], v[56:57], s[6:7], v[60:61]
	v_fma_f64 v[36:37], v[58:59], s[6:7], -v[68:69]
	v_add_f64 v[44:45], v[44:45], v[92:93]
	v_fma_f64 v[56:57], v[58:59], s[18:19], -v[131:132]
	v_add_f64 v[18:19], v[20:21], v[18:19]
	v_fma_f64 v[20:21], v[58:59], s[12:13], -v[137:138]
	v_fma_f64 v[28:29], v[74:75], s[12:13], v[155:156]
	v_add_f64 v[68:69], v[14:15], v[10:11]
	v_add_f64 v[92:93], v[12:13], v[8:9]
	v_fma_f64 v[94:95], v[74:75], s[10:11], -v[96:97]
	v_fma_f64 v[149:150], v[72:73], s[10:11], v[133:134]
	v_fma_f64 v[58:59], v[74:75], s[0:1], -v[42:43]
	v_fma_f64 v[60:61], v[72:73], s[0:1], v[141:142]
	v_add_f64 v[46:47], v[46:47], v[125:126]
	v_add_f64 v[123:124], v[24:25], v[16:17]
	;; [unrolled: 1-line block ×3, first 2 shown]
	v_fma_f64 v[125:126], v[74:75], s[6:7], -v[40:41]
	v_fma_f64 v[127:128], v[72:73], s[6:7], v[80:81]
	v_add_f64 v[88:89], v[100:101], v[88:89]
	v_add_f64 v[90:91], v[117:118], v[90:91]
	;; [unrolled: 1-line block ×3, first 2 shown]
	v_fma_f64 v[102:103], v[74:75], s[4:5], -v[76:77]
	v_fma_f64 v[117:118], v[72:73], s[4:5], v[78:79]
	v_fma_f64 v[96:97], v[74:75], s[10:11], v[96:97]
	;; [unrolled: 1-line block ×4, first 2 shown]
	v_add_f64 v[26:27], v[34:35], v[26:27]
	v_add_f64 v[34:35], v[36:37], v[32:33]
	v_fma_f64 v[74:75], v[74:75], s[4:5], v[76:77]
	v_fma_f64 v[76:77], v[72:73], s[4:5], -v[78:79]
	v_add_f64 v[44:45], v[56:57], v[44:45]
	v_add_f64 v[18:19], v[20:21], v[18:19]
	v_fma_f64 v[56:57], v[72:73], s[6:7], -v[80:81]
	v_fma_f64 v[78:79], v[72:73], s[0:1], -v[141:142]
	;; [unrolled: 1-line block ×3, first 2 shown]
	v_add_f64 v[8:9], v[28:29], v[86:87]
	v_add_f64 v[10:11], v[30:31], v[82:83]
	;; [unrolled: 1-line block ×17, first 2 shown]
	v_mov_b32_e32 v46, 0xa90
	v_mov_b32_e32 v47, 4
	v_add_f64 v[34:35], v[56:57], v[18:19]
	v_add_f64 v[26:27], v[78:79], v[44:45]
	;; [unrolled: 1-line block ×4, first 2 shown]
	v_mul_u32_u24_sdwa v44, v111, v46 dst_sel:DWORD dst_unused:UNUSED_PAD src0_sel:WORD_0 src1_sel:DWORD
	v_lshlrev_b32_sdwa v45, v47, v112 dst_sel:DWORD dst_unused:UNUSED_PAD src0_sel:DWORD src1_sel:BYTE_0
	v_cmp_gt_u32_e64 s0, 13, v106
	v_add3_u32 v44, 0, v44, v45
	ds_write_b128 v44, v[28:31]
	ds_write_b128 v44, v[48:51] offset:208
	ds_write_b128 v44, v[52:55] offset:416
	;; [unrolled: 1-line block ×12, first 2 shown]
	s_waitcnt lgkmcnt(0)
	s_barrier
	buffer_gl0_inv
	ds_read_b128 v[16:19], v114
	ds_read_b128 v[32:35], v114 offset:2704
	ds_read_b128 v[44:47], v114 offset:5408
	ds_read_b128 v[28:31], v114 offset:6240
	ds_read_b128 v[24:27], v115
	ds_read_b128 v[20:23], v116
	ds_read_b128 v[48:51], v114 offset:3536
	ds_read_b128 v[56:59], v114 offset:4368
	;; [unrolled: 1-line block ×6, first 2 shown]
                                        ; implicit-def: $vgpr6_vgpr7
                                        ; implicit-def: $vgpr10_vgpr11
                                        ; implicit-def: $vgpr14_vgpr15
	s_and_saveexec_b32 s1, s0
	s_cbranch_execz .LBB0_15
; %bb.14:
	v_mul_i32_i24_e32 v0, 0xffffff40, v106
	v_add_nc_u32_e32 v12, v110, v0
	ds_read_b128 v[0:3], v113
	ds_read_b128 v[4:7], v12 offset:5200
	ds_read_b128 v[8:11], v12 offset:7904
	;; [unrolled: 1-line block ×3, first 2 shown]
.LBB0_15:
	s_or_b32 exec_lo, exec_lo, s1
	s_and_saveexec_b32 s1, vcc_lo
	s_cbranch_execz .LBB0_18
; %bb.16:
	v_mul_i32_i24_e32 v68, 3, v109
	v_mov_b32_e32 v69, 0
	v_mul_u32_u24_e32 v72, 3, v106
	v_mul_lo_u32 v109, s34, v67
	v_add_nc_u32_e32 v110, 52, v106
	v_add_nc_u32_e32 v111, 0x68, v106
	v_lshlrev_b64 v[70:71], 4, v[68:69]
	v_mul_i32_i24_e32 v68, 3, v108
	v_lshlrev_b32_e32 v72, 4, v72
	v_mul_lo_u32 v108, s35, v66
	v_mul_hi_u32 v112, 0x60f25deb, v110
	v_mul_hi_u32 v113, 0x60f25deb, v111
	v_add_co_u32 v70, vcc_lo, s8, v70
	v_add_co_ci_u32_e32 v71, vcc_lo, s9, v71, vcc_lo
	v_lshlrev_b64 v[64:65], 4, v[64:65]
	v_add_co_u32 v102, vcc_lo, 0x9c0, v70
	v_add_co_ci_u32_e32 v103, vcc_lo, 0, v71, vcc_lo
	v_add_co_u32 v86, vcc_lo, 0x800, v70
	v_add_co_ci_u32_e32 v87, vcc_lo, 0, v71, vcc_lo
	v_lshlrev_b64 v[70:71], 4, v[68:69]
	v_add_co_u32 v68, s1, s8, v72
	v_add_co_ci_u32_e64 v72, null, s9, 0, s1
	v_lshrrev_b32_e32 v116, 6, v112
	v_add_co_u32 v82, vcc_lo, s8, v70
	v_add_co_ci_u32_e32 v83, vcc_lo, s9, v71, vcc_lo
	v_add_co_u32 v74, vcc_lo, 0x9c0, v68
	v_add_co_ci_u32_e32 v75, vcc_lo, 0, v72, vcc_lo
	v_add_co_u32 v78, vcc_lo, 0x800, v68
	v_add_co_ci_u32_e32 v79, vcc_lo, 0, v72, vcc_lo
	v_add_co_u32 v98, vcc_lo, 0x9c0, v82
	v_add_co_ci_u32_e32 v99, vcc_lo, 0, v83, vcc_lo
	s_clause 0x2
	global_load_dwordx4 v[70:73], v[74:75], off offset:32
	global_load_dwordx4 v[74:77], v[74:75], off offset:16
	;; [unrolled: 1-line block ×3, first 2 shown]
	v_add_co_u32 v94, vcc_lo, 0x800, v82
	v_add_co_ci_u32_e32 v95, vcc_lo, 0, v83, vcc_lo
	s_clause 0x5
	global_load_dwordx4 v[82:85], v[102:103], off offset:16
	global_load_dwordx4 v[86:89], v[86:87], off offset:448
	;; [unrolled: 1-line block ×6, first 2 shown]
	v_mad_u64_u32 v[67:68], null, s34, v66, 0
	v_mul_hi_u32 v66, 0x60f25deb, v106
	v_lshrrev_b32_e32 v118, 6, v113
	v_add3_u32 v68, v68, v109, v108
	v_mul_lo_u32 v109, 0xa9, v116
	v_lshrrev_b32_e32 v108, 6, v66
	v_mul_lo_u32 v112, 0xa9, v118
	v_add_nc_u32_e32 v66, 0x9c, v106
	v_lshlrev_b64 v[67:68], 4, v[67:68]
	v_mul_lo_u32 v108, 0xa9, v108
	v_cmp_gt_u32_e32 vcc_lo, 0xa9, v66
	v_add_co_u32 v67, s1, s14, v67
	v_add_co_ci_u32_e64 v68, s1, s15, v68, s1
	v_sub_nc_u32_e32 v119, v106, v108
	v_add_co_u32 v64, s1, v67, v64
	v_sub_nc_u32_e32 v108, v110, v109
	v_sub_nc_u32_e32 v109, v111, v112
	v_add_nc_u32_e32 v122, 0xa9, v119
	v_add_nc_u32_e32 v124, 0x152, v119
	v_add_co_ci_u32_e64 v65, s1, v68, v65, s1
	v_mad_u64_u32 v[67:68], null, s2, v119, 0
	v_mad_u64_u32 v[110:111], null, s2, v122, 0
	v_add_nc_u32_e32 v125, 0x1fb, v119
	v_mad_u64_u32 v[112:113], null, s2, v124, 0
	v_mad_u64_u32 v[116:117], null, 0x2a4, v116, v[108:109]
	;; [unrolled: 1-line block ×5, first 2 shown]
	v_mov_b32_e32 v68, v111
	v_mov_b32_e32 v109, v113
	;; [unrolled: 1-line block ×3, first 2 shown]
	v_mad_u64_u32 v[118:119], null, s2, v116, 0
	v_mad_u64_u32 v[122:123], null, s3, v122, v[68:69]
	v_add_nc_u32_e32 v137, 0xa9, v116
	v_add_nc_u32_e32 v138, 0x152, v116
	v_mad_u64_u32 v[120:121], null, s2, v108, 0
	v_add_nc_u32_e32 v141, 0x152, v108
	v_add_nc_u32_e32 v139, 0x1fb, v116
	;; [unrolled: 1-line block ×4, first 2 shown]
	v_mad_u64_u32 v[123:124], null, s3, v124, v[109:110]
	v_mad_u64_u32 v[124:125], null, s3, v125, v[111:112]
	;; [unrolled: 1-line block ×6, first 2 shown]
	v_mov_b32_e32 v109, v119
	v_mov_b32_e32 v111, v122
	v_mad_u64_u32 v[131:132], null, s2, v140, 0
	v_mad_u64_u32 v[135:136], null, s2, v142, 0
	v_mov_b32_e32 v68, v117
	v_mov_b32_e32 v117, v121
	v_mad_u64_u32 v[121:122], null, s3, v116, v[109:110]
	v_lshlrev_b64 v[110:111], 4, v[110:111]
	v_mov_b32_e32 v109, v126
	v_mov_b32_e32 v113, v123
	;; [unrolled: 1-line block ×3, first 2 shown]
	v_mad_u64_u32 v[122:123], null, s3, v108, v[117:118]
	v_mov_b32_e32 v117, v134
	v_mov_b32_e32 v119, v130
	;; [unrolled: 1-line block ×4, first 2 shown]
	v_mad_u64_u32 v[136:137], null, s3, v137, v[109:110]
	v_mad_u64_u32 v[137:138], null, s3, v138, v[116:117]
	;; [unrolled: 1-line block ×3, first 2 shown]
	v_mov_b32_e32 v115, v124
	v_mad_u64_u32 v[108:109], null, s3, v140, v[108:109]
	v_mad_u64_u32 v[116:117], null, s3, v141, v[117:118]
	;; [unrolled: 1-line block ×3, first 2 shown]
	v_lshlrev_b64 v[67:68], 4, v[67:68]
	v_lshlrev_b64 v[112:113], 4, v[112:113]
	v_mov_b32_e32 v119, v121
	v_lshlrev_b64 v[114:115], 4, v[114:115]
	v_mov_b32_e32 v121, v122
	v_mov_b32_e32 v126, v136
	v_add_co_u32 v67, s1, v64, v67
	v_add_co_ci_u32_e64 v68, s1, v65, v68, s1
	v_add_co_u32 v109, s1, v64, v110
	v_add_co_ci_u32_e64 v110, s1, v65, v111, s1
	v_mov_b32_e32 v128, v137
	v_mov_b32_e32 v130, v138
	;; [unrolled: 1-line block ×5, first 2 shown]
	s_waitcnt vmcnt(8) lgkmcnt(3)
	v_mul_f64 v[143:144], v[62:63], v[72:73]
	s_waitcnt vmcnt(7)
	v_mul_f64 v[139:140], v[46:47], v[74:75]
	s_waitcnt vmcnt(6)
	v_mul_f64 v[141:142], v[34:35], v[80:81]
	v_mul_f64 v[46:47], v[46:47], v[76:77]
	;; [unrolled: 1-line block ×4, first 2 shown]
	s_waitcnt vmcnt(5) lgkmcnt(2)
	v_mul_f64 v[145:146], v[38:39], v[82:83]
	s_waitcnt vmcnt(3)
	v_mul_f64 v[149:150], v[30:31], v[90:91]
	s_waitcnt vmcnt(2)
	v_mul_f64 v[151:152], v[50:51], v[96:97]
	v_mul_f64 v[96:97], v[48:49], v[96:97]
	s_waitcnt vmcnt(1) lgkmcnt(1)
	v_mul_f64 v[153:154], v[52:53], v[100:101]
	v_mul_f64 v[30:31], v[30:31], v[92:93]
	;; [unrolled: 1-line block ×5, first 2 shown]
	s_waitcnt vmcnt(0) lgkmcnt(0)
	v_mul_f64 v[155:156], v[40:41], v[104:105]
	v_mul_f64 v[38:39], v[38:39], v[84:85]
	;; [unrolled: 1-line block ×3, first 2 shown]
	v_fma_f64 v[60:61], v[60:61], v[70:71], -v[143:144]
	v_fma_f64 v[76:77], v[44:45], v[76:77], v[139:140]
	v_fma_f64 v[32:33], v[32:33], v[78:79], -v[141:142]
	v_fma_f64 v[44:45], v[44:45], v[74:75], -v[46:47]
	v_fma_f64 v[34:35], v[34:35], v[78:79], v[80:81]
	v_fma_f64 v[46:47], v[62:63], v[70:71], v[72:73]
	;; [unrolled: 1-line block ×4, first 2 shown]
	v_fma_f64 v[48:49], v[48:49], v[94:95], -v[151:152]
	v_fma_f64 v[50:51], v[50:51], v[94:95], v[96:97]
	v_fma_f64 v[54:55], v[54:55], v[98:99], v[153:154]
	v_fma_f64 v[28:29], v[28:29], v[90:91], -v[30:31]
	v_fma_f64 v[30:31], v[52:53], v[98:99], -v[100:101]
	;; [unrolled: 1-line block ×3, first 2 shown]
	v_fma_f64 v[58:59], v[58:59], v[86:87], v[88:89]
	v_fma_f64 v[42:43], v[42:43], v[102:103], v[155:156]
	v_fma_f64 v[36:37], v[36:37], v[82:83], -v[38:39]
	v_fma_f64 v[38:39], v[40:41], v[102:103], -v[104:105]
	v_add_co_u32 v72, s1, v64, v112
	v_lshlrev_b64 v[40:41], 4, v[118:119]
	v_add_co_ci_u32_e64 v73, s1, v65, v113, s1
	v_add_f64 v[52:53], v[18:19], -v[76:77]
	v_add_co_u32 v74, s1, v64, v114
	v_add_f64 v[76:77], v[16:17], -v[44:45]
	v_add_f64 v[46:47], v[34:35], -v[46:47]
	;; [unrolled: 1-line block ×5, first 2 shown]
	v_add_co_ci_u32_e64 v75, s1, v65, v115, s1
	v_add_f64 v[54:55], v[50:51], -v[54:55]
	v_add_f64 v[70:71], v[24:25], -v[28:29]
	;; [unrolled: 1-line block ×3, first 2 shown]
	v_add_co_u32 v102, s1, v64, v40
	v_add_f64 v[30:31], v[58:59], -v[42:43]
	v_add_f64 v[78:79], v[20:21], -v[36:37]
	;; [unrolled: 1-line block ×3, first 2 shown]
	v_lshlrev_b64 v[38:39], 4, v[120:121]
	v_add_co_ci_u32_e64 v103, s1, v65, v41, s1
	v_lshlrev_b64 v[42:43], 4, v[125:126]
	v_fma_f64 v[86:87], v[18:19], 2.0, -v[52:53]
	v_lshlrev_b64 v[80:81], 4, v[127:128]
	v_add_co_u32 v104, s1, v64, v38
	v_fma_f64 v[34:35], v[34:35], 2.0, -v[46:47]
	v_fma_f64 v[88:89], v[16:17], 2.0, -v[76:77]
	;; [unrolled: 1-line block ×5, first 2 shown]
	v_add_f64 v[18:19], v[52:53], v[44:45]
	v_fma_f64 v[50:51], v[50:51], 2.0, -v[54:55]
	v_fma_f64 v[94:95], v[24:25], 2.0, -v[70:71]
	;; [unrolled: 1-line block ×3, first 2 shown]
	v_add_f64 v[16:17], v[76:77], -v[46:47]
	v_add_co_ci_u32_e64 v105, s1, v65, v39, s1
	v_fma_f64 v[58:59], v[58:59], 2.0, -v[30:31]
	v_fma_f64 v[96:97], v[20:21], 2.0, -v[78:79]
	;; [unrolled: 1-line block ×3, first 2 shown]
	v_add_f64 v[20:21], v[78:79], -v[30:31]
	v_add_f64 v[30:31], v[62:63], v[28:29]
	v_add_f64 v[28:29], v[70:71], -v[54:55]
	v_add_f64 v[22:23], v[60:61], v[36:37]
	v_add_co_u32 v111, s1, v64, v42
	v_add_co_ci_u32_e64 v112, s1, v65, v43, s1
	v_add_f64 v[26:27], v[86:87], -v[34:35]
	v_add_f64 v[24:25], v[88:89], -v[32:33]
	v_lshlrev_b64 v[82:83], 4, v[129:130]
	v_lshlrev_b64 v[84:85], 4, v[131:132]
	v_fma_f64 v[42:43], v[52:53], 2.0, -v[18:19]
	v_add_f64 v[34:35], v[92:93], -v[50:51]
	v_add_co_u32 v80, s1, v64, v80
	v_add_f64 v[32:33], v[94:95], -v[48:49]
	v_fma_f64 v[40:41], v[76:77], 2.0, -v[16:17]
	v_add_co_ci_u32_e64 v81, s1, v65, v81, s1
	v_add_f64 v[38:39], v[90:91], -v[58:59]
	v_add_f64 v[36:37], v[96:97], -v[56:57]
	v_fma_f64 v[56:57], v[78:79], 2.0, -v[20:21]
	v_fma_f64 v[50:51], v[62:63], 2.0, -v[30:31]
	;; [unrolled: 1-line block ×4, first 2 shown]
	v_lshlrev_b64 v[98:99], 4, v[133:134]
	v_add_co_u32 v82, s1, v64, v82
	v_add_co_ci_u32_e64 v83, s1, v65, v83, s1
	v_fma_f64 v[46:47], v[86:87], 2.0, -v[26:27]
	v_fma_f64 v[44:45], v[88:89], 2.0, -v[24:25]
	v_lshlrev_b64 v[100:101], 4, v[135:136]
	v_add_co_u32 v70, s1, v64, v84
	v_fma_f64 v[54:55], v[92:93], 2.0, -v[34:35]
	v_add_co_ci_u32_e64 v71, s1, v65, v85, s1
	v_fma_f64 v[52:53], v[94:95], 2.0, -v[32:33]
	v_add_co_u32 v76, s1, v64, v98
	v_fma_f64 v[62:63], v[90:91], 2.0, -v[38:39]
	v_fma_f64 v[60:61], v[96:97], 2.0, -v[36:37]
	v_add_co_ci_u32_e64 v77, s1, v65, v99, s1
	v_add_co_u32 v78, s1, v64, v100
	v_add_co_ci_u32_e64 v79, s1, v65, v101, s1
	global_store_dwordx4 v[67:68], v[44:47], off
	global_store_dwordx4 v[109:110], v[40:43], off
	;; [unrolled: 1-line block ×12, first 2 shown]
	s_and_b32 exec_lo, exec_lo, vcc_lo
	s_cbranch_execz .LBB0_18
; %bb.17:
	v_add_nc_u32_e32 v16, -13, v106
	v_cndmask_b32_e64 v16, v16, v107, s0
	v_mul_i32_i24_e32 v68, 3, v16
	v_lshlrev_b64 v[16:17], 4, v[68:69]
	v_add_co_u32 v18, vcc_lo, s8, v16
	v_add_co_ci_u32_e32 v19, vcc_lo, s9, v17, vcc_lo
	v_add_co_u32 v16, vcc_lo, 0x800, v18
	v_add_co_ci_u32_e32 v17, vcc_lo, 0, v19, vcc_lo
	;; [unrolled: 2-line block ×3, first 2 shown]
	s_clause 0x2
	global_load_dwordx4 v[16:19], v[16:17], off offset:448
	global_load_dwordx4 v[20:23], v[24:25], off offset:16
	;; [unrolled: 1-line block ×3, first 2 shown]
	s_waitcnt vmcnt(2)
	v_mul_f64 v[28:29], v[6:7], v[18:19]
	v_mul_f64 v[18:19], v[4:5], v[18:19]
	s_waitcnt vmcnt(1)
	v_mul_f64 v[30:31], v[10:11], v[22:23]
	v_mul_f64 v[22:23], v[8:9], v[22:23]
	;; [unrolled: 3-line block ×3, first 2 shown]
	v_fma_f64 v[4:5], v[4:5], v[16:17], -v[28:29]
	v_fma_f64 v[6:7], v[6:7], v[16:17], v[18:19]
	v_fma_f64 v[8:9], v[8:9], v[20:21], -v[30:31]
	v_fma_f64 v[10:11], v[10:11], v[20:21], v[22:23]
	v_fma_f64 v[12:13], v[12:13], v[24:25], -v[32:33]
	v_fma_f64 v[14:15], v[14:15], v[24:25], v[26:27]
	v_add_nc_u32_e32 v28, 0x145, v106
	v_add_nc_u32_e32 v29, 0x1ee, v106
	;; [unrolled: 1-line block ×3, first 2 shown]
	v_mad_u64_u32 v[20:21], null, s2, v66, 0
	v_mad_u64_u32 v[22:23], null, s2, v28, 0
	;; [unrolled: 1-line block ×4, first 2 shown]
	v_add_f64 v[8:9], v[0:1], -v[8:9]
	v_add_f64 v[10:11], v[2:3], -v[10:11]
	;; [unrolled: 1-line block ×4, first 2 shown]
	v_fma_f64 v[16:17], v[0:1], 2.0, -v[8:9]
	v_fma_f64 v[18:19], v[2:3], 2.0, -v[10:11]
	;; [unrolled: 1-line block ×4, first 2 shown]
	v_add_f64 v[0:1], v[8:9], -v[14:15]
	v_add_f64 v[2:3], v[10:11], v[12:13]
	v_mad_u64_u32 v[12:13], null, s3, v66, v[21:22]
	v_mov_b32_e32 v13, v25
	v_mov_b32_e32 v14, v27
	v_mad_u64_u32 v[27:28], null, s3, v28, v[23:24]
	v_mad_u64_u32 v[28:29], null, s3, v29, v[13:14]
	;; [unrolled: 1-line block ×3, first 2 shown]
	v_mov_b32_e32 v21, v12
	v_mov_b32_e32 v23, v27
	;; [unrolled: 1-line block ×3, first 2 shown]
	v_lshlrev_b64 v[20:21], 4, v[20:21]
	v_add_f64 v[4:5], v[16:17], -v[4:5]
	v_add_f64 v[6:7], v[18:19], -v[6:7]
	v_mov_b32_e32 v27, v13
	v_fma_f64 v[8:9], v[8:9], 2.0, -v[0:1]
	v_fma_f64 v[10:11], v[10:11], 2.0, -v[2:3]
	v_add_co_u32 v20, vcc_lo, v64, v20
	v_add_co_ci_u32_e32 v21, vcc_lo, v65, v21, vcc_lo
	v_fma_f64 v[12:13], v[16:17], 2.0, -v[4:5]
	v_fma_f64 v[14:15], v[18:19], 2.0, -v[6:7]
	v_lshlrev_b64 v[16:17], 4, v[22:23]
	v_lshlrev_b64 v[18:19], 4, v[24:25]
	v_lshlrev_b64 v[22:23], 4, v[26:27]
	v_add_co_u32 v16, vcc_lo, v64, v16
	v_add_co_ci_u32_e32 v17, vcc_lo, v65, v17, vcc_lo
	v_add_co_u32 v18, vcc_lo, v64, v18
	v_add_co_ci_u32_e32 v19, vcc_lo, v65, v19, vcc_lo
	;; [unrolled: 2-line block ×3, first 2 shown]
	global_store_dwordx4 v[20:21], v[12:15], off
	global_store_dwordx4 v[16:17], v[8:11], off
	;; [unrolled: 1-line block ×4, first 2 shown]
.LBB0_18:
	s_endpgm
	.section	.rodata,"a",@progbits
	.p2align	6, 0x0
	.amdhsa_kernel fft_rtc_fwd_len676_factors_13_13_4_wgs_52_tpt_52_dp_op_CI_CI_sbrr_dirReg
		.amdhsa_group_segment_fixed_size 0
		.amdhsa_private_segment_fixed_size 0
		.amdhsa_kernarg_size 104
		.amdhsa_user_sgpr_count 6
		.amdhsa_user_sgpr_private_segment_buffer 1
		.amdhsa_user_sgpr_dispatch_ptr 0
		.amdhsa_user_sgpr_queue_ptr 0
		.amdhsa_user_sgpr_kernarg_segment_ptr 1
		.amdhsa_user_sgpr_dispatch_id 0
		.amdhsa_user_sgpr_flat_scratch_init 0
		.amdhsa_user_sgpr_private_segment_size 0
		.amdhsa_wavefront_size32 1
		.amdhsa_uses_dynamic_stack 0
		.amdhsa_system_sgpr_private_segment_wavefront_offset 0
		.amdhsa_system_sgpr_workgroup_id_x 1
		.amdhsa_system_sgpr_workgroup_id_y 0
		.amdhsa_system_sgpr_workgroup_id_z 0
		.amdhsa_system_sgpr_workgroup_info 0
		.amdhsa_system_vgpr_workitem_id 0
		.amdhsa_next_free_vgpr 194
		.amdhsa_next_free_sgpr 46
		.amdhsa_reserve_vcc 1
		.amdhsa_reserve_flat_scratch 0
		.amdhsa_float_round_mode_32 0
		.amdhsa_float_round_mode_16_64 0
		.amdhsa_float_denorm_mode_32 3
		.amdhsa_float_denorm_mode_16_64 3
		.amdhsa_dx10_clamp 1
		.amdhsa_ieee_mode 1
		.amdhsa_fp16_overflow 0
		.amdhsa_workgroup_processor_mode 1
		.amdhsa_memory_ordered 1
		.amdhsa_forward_progress 0
		.amdhsa_shared_vgpr_count 0
		.amdhsa_exception_fp_ieee_invalid_op 0
		.amdhsa_exception_fp_denorm_src 0
		.amdhsa_exception_fp_ieee_div_zero 0
		.amdhsa_exception_fp_ieee_overflow 0
		.amdhsa_exception_fp_ieee_underflow 0
		.amdhsa_exception_fp_ieee_inexact 0
		.amdhsa_exception_int_div_zero 0
	.end_amdhsa_kernel
	.text
.Lfunc_end0:
	.size	fft_rtc_fwd_len676_factors_13_13_4_wgs_52_tpt_52_dp_op_CI_CI_sbrr_dirReg, .Lfunc_end0-fft_rtc_fwd_len676_factors_13_13_4_wgs_52_tpt_52_dp_op_CI_CI_sbrr_dirReg
                                        ; -- End function
	.section	.AMDGPU.csdata,"",@progbits
; Kernel info:
; codeLenInByte = 12620
; NumSgprs: 48
; NumVgprs: 194
; ScratchSize: 0
; MemoryBound: 1
; FloatMode: 240
; IeeeMode: 1
; LDSByteSize: 0 bytes/workgroup (compile time only)
; SGPRBlocks: 5
; VGPRBlocks: 24
; NumSGPRsForWavesPerEU: 48
; NumVGPRsForWavesPerEU: 194
; Occupancy: 4
; WaveLimiterHint : 1
; COMPUTE_PGM_RSRC2:SCRATCH_EN: 0
; COMPUTE_PGM_RSRC2:USER_SGPR: 6
; COMPUTE_PGM_RSRC2:TRAP_HANDLER: 0
; COMPUTE_PGM_RSRC2:TGID_X_EN: 1
; COMPUTE_PGM_RSRC2:TGID_Y_EN: 0
; COMPUTE_PGM_RSRC2:TGID_Z_EN: 0
; COMPUTE_PGM_RSRC2:TIDIG_COMP_CNT: 0
	.text
	.p2alignl 6, 3214868480
	.fill 48, 4, 3214868480
	.type	__hip_cuid_7f6ef1cd106d56f6,@object ; @__hip_cuid_7f6ef1cd106d56f6
	.section	.bss,"aw",@nobits
	.globl	__hip_cuid_7f6ef1cd106d56f6
__hip_cuid_7f6ef1cd106d56f6:
	.byte	0                               ; 0x0
	.size	__hip_cuid_7f6ef1cd106d56f6, 1

	.ident	"AMD clang version 19.0.0git (https://github.com/RadeonOpenCompute/llvm-project roc-6.4.0 25133 c7fe45cf4b819c5991fe208aaa96edf142730f1d)"
	.section	".note.GNU-stack","",@progbits
	.addrsig
	.addrsig_sym __hip_cuid_7f6ef1cd106d56f6
	.amdgpu_metadata
---
amdhsa.kernels:
  - .args:
      - .actual_access:  read_only
        .address_space:  global
        .offset:         0
        .size:           8
        .value_kind:     global_buffer
      - .offset:         8
        .size:           8
        .value_kind:     by_value
      - .actual_access:  read_only
        .address_space:  global
        .offset:         16
        .size:           8
        .value_kind:     global_buffer
      - .actual_access:  read_only
        .address_space:  global
        .offset:         24
        .size:           8
        .value_kind:     global_buffer
      - .actual_access:  read_only
        .address_space:  global
        .offset:         32
        .size:           8
        .value_kind:     global_buffer
      - .offset:         40
        .size:           8
        .value_kind:     by_value
      - .actual_access:  read_only
        .address_space:  global
        .offset:         48
        .size:           8
        .value_kind:     global_buffer
      - .actual_access:  read_only
        .address_space:  global
        .offset:         56
        .size:           8
        .value_kind:     global_buffer
      - .offset:         64
        .size:           4
        .value_kind:     by_value
      - .actual_access:  read_only
        .address_space:  global
        .offset:         72
        .size:           8
        .value_kind:     global_buffer
      - .actual_access:  read_only
        .address_space:  global
        .offset:         80
        .size:           8
        .value_kind:     global_buffer
      - .actual_access:  read_only
        .address_space:  global
        .offset:         88
        .size:           8
        .value_kind:     global_buffer
      - .actual_access:  write_only
        .address_space:  global
        .offset:         96
        .size:           8
        .value_kind:     global_buffer
    .group_segment_fixed_size: 0
    .kernarg_segment_align: 8
    .kernarg_segment_size: 104
    .language:       OpenCL C
    .language_version:
      - 2
      - 0
    .max_flat_workgroup_size: 52
    .name:           fft_rtc_fwd_len676_factors_13_13_4_wgs_52_tpt_52_dp_op_CI_CI_sbrr_dirReg
    .private_segment_fixed_size: 0
    .sgpr_count:     48
    .sgpr_spill_count: 0
    .symbol:         fft_rtc_fwd_len676_factors_13_13_4_wgs_52_tpt_52_dp_op_CI_CI_sbrr_dirReg.kd
    .uniform_work_group_size: 1
    .uses_dynamic_stack: false
    .vgpr_count:     194
    .vgpr_spill_count: 0
    .wavefront_size: 32
    .workgroup_processor_mode: 1
amdhsa.target:   amdgcn-amd-amdhsa--gfx1030
amdhsa.version:
  - 1
  - 2
...

	.end_amdgpu_metadata
